;; amdgpu-corpus repo=ROCm/rocFFT kind=compiled arch=gfx1100 opt=O3
	.text
	.amdgcn_target "amdgcn-amd-amdhsa--gfx1100"
	.amdhsa_code_object_version 6
	.protected	bluestein_single_fwd_len375_dim1_dp_op_CI_CI ; -- Begin function bluestein_single_fwd_len375_dim1_dp_op_CI_CI
	.globl	bluestein_single_fwd_len375_dim1_dp_op_CI_CI
	.p2align	8
	.type	bluestein_single_fwd_len375_dim1_dp_op_CI_CI,@function
bluestein_single_fwd_len375_dim1_dp_op_CI_CI: ; @bluestein_single_fwd_len375_dim1_dp_op_CI_CI
; %bb.0:
	s_load_b128 s[16:19], s[0:1], 0x28
	v_mul_u32_u24_e32 v1, 0xa3e, v0
	s_mov_b32 s2, exec_lo
	s_delay_alu instid0(VALU_DEP_1) | instskip(NEXT) | instid1(VALU_DEP_1)
	v_lshrrev_b32_e32 v1, 16, v1
	v_mad_u64_u32 v[180:181], null, s15, 5, v[1:2]
	v_mov_b32_e32 v181, 0
	s_waitcnt lgkmcnt(0)
	s_delay_alu instid0(VALU_DEP_1)
	v_cmpx_gt_u64_e64 s[16:17], v[180:181]
	s_cbranch_execz .LBB0_2
; %bb.1:
	s_clause 0x1
	s_load_b128 s[4:7], s[0:1], 0x18
	s_load_b128 s[8:11], s[0:1], 0x0
	v_mul_lo_u16 v1, v1, 25
	s_mov_b32 s17, 0xbfee6f0e
	s_load_b64 s[0:1], s[0:1], 0x38
	s_delay_alu instid0(VALU_DEP_1) | instskip(NEXT) | instid1(VALU_DEP_1)
	v_sub_nc_u16 v64, v0, v1
	v_and_b32_e32 v183, 0xffff, v64
	s_delay_alu instid0(VALU_DEP_1)
	v_lshlrev_b32_e32 v60, 4, v183
	s_waitcnt lgkmcnt(0)
	s_load_b128 s[12:15], s[4:5], 0x0
	s_waitcnt lgkmcnt(0)
	v_mad_u64_u32 v[0:1], null, s14, v180, 0
	v_mad_u64_u32 v[2:3], null, s12, v183, 0
	s_mul_i32 s2, s13, 0x4b0
	s_mul_hi_u32 s4, s12, 0x4b0
	s_mul_i32 s3, s12, 0x4b0
	s_add_i32 s2, s4, s2
	v_add_co_u32 v185, s4, s8, v60
	s_delay_alu instid0(VALU_DEP_2)
	v_mad_u64_u32 v[4:5], null, s15, v180, v[1:2]
	s_mov_b32 s14, 0x134454ff
	s_mov_b32 s15, 0x3fee6f0e
	;; [unrolled: 1-line block ×3, first 2 shown]
	v_add_co_ci_u32_e64 v186, null, s9, 0, s4
	s_mul_i32 s4, s13, 0xffffeed0
	s_delay_alu instid0(VALU_DEP_2) | instskip(SKIP_2) | instid1(VALU_DEP_1)
	v_mad_u64_u32 v[5:6], null, s13, v183, v[3:4]
	v_mov_b32_e32 v1, v4
	s_sub_i32 s4, s4, s12
	v_lshlrev_b64 v[0:1], 4, v[0:1]
	s_delay_alu instid0(VALU_DEP_3) | instskip(NEXT) | instid1(VALU_DEP_2)
	v_mov_b32_e32 v3, v5
	v_add_co_u32 v0, vcc_lo, s18, v0
	s_delay_alu instid0(VALU_DEP_2) | instskip(NEXT) | instid1(VALU_DEP_4)
	v_lshlrev_b64 v[2:3], 4, v[2:3]
	v_add_co_ci_u32_e32 v1, vcc_lo, s19, v1, vcc_lo
	s_mov_b32 s19, 0xbfebb67a
	s_delay_alu instid0(VALU_DEP_2) | instskip(NEXT) | instid1(VALU_DEP_2)
	v_add_co_u32 v0, vcc_lo, v0, v2
	v_add_co_ci_u32_e32 v1, vcc_lo, v1, v3, vcc_lo
	global_load_b128 v[6:9], v60, s[8:9]
	global_load_b128 v[12:15], v[0:1], off
	v_add_co_u32 v0, vcc_lo, v0, s3
	v_add_co_ci_u32_e32 v1, vcc_lo, s2, v1, vcc_lo
	global_load_b128 v[24:27], v60, s[8:9] offset:1200
	global_load_b128 v[16:19], v[0:1], off
	v_add_co_u32 v0, vcc_lo, v0, s3
	v_add_co_ci_u32_e32 v1, vcc_lo, s2, v1, vcc_lo
	global_load_b128 v[28:31], v60, s[8:9] offset:2400
	global_load_b128 v[20:23], v[0:1], off
	v_add_co_u32 v0, vcc_lo, v0, s3
	v_add_co_ci_u32_e32 v1, vcc_lo, s2, v1, vcc_lo
	s_waitcnt vmcnt(5)
	scratch_store_b128 off, v[6:9], off offset:224 ; 16-byte Folded Spill
	s_waitcnt vmcnt(4)
	v_mul_f64 v[2:3], v[14:15], v[8:9]
	v_mul_f64 v[4:5], v[12:13], v[8:9]
	s_waitcnt vmcnt(3)
	scratch_store_b128 off, v[24:27], off   ; 16-byte Folded Spill
	s_waitcnt vmcnt(1)
	scratch_store_b128 off, v[28:31], off offset:16 ; 16-byte Folded Spill
	v_fma_f64 v[65:66], v[12:13], v[6:7], v[2:3]
	v_fma_f64 v[67:68], v[14:15], v[6:7], -v[4:5]
	v_mul_f64 v[2:3], v[18:19], v[26:27]
	v_mul_f64 v[4:5], v[16:17], v[26:27]
	global_load_b128 v[6:9], v60, s[8:9] offset:3600
	v_fma_f64 v[69:70], v[16:17], v[24:25], v[2:3]
	v_fma_f64 v[71:72], v[18:19], v[24:25], -v[4:5]
	global_load_b128 v[16:19], v[0:1], off
	s_waitcnt vmcnt(2)
	v_mul_f64 v[2:3], v[22:23], v[30:31]
	v_mul_f64 v[4:5], v[20:21], v[30:31]
	v_add_co_u32 v0, vcc_lo, v0, s3
	v_add_co_ci_u32_e32 v1, vcc_lo, s2, v1, vcc_lo
	v_add_co_u32 v181, vcc_lo, 0x1000, v185
	v_add_co_ci_u32_e32 v182, vcc_lo, 0, v186, vcc_lo
	v_fma_f64 v[73:74], v[20:21], v[28:29], v[2:3]
	v_fma_f64 v[75:76], v[22:23], v[28:29], -v[4:5]
	global_load_b128 v[20:23], v[0:1], off
	s_waitcnt vmcnt(2)
	scratch_store_b128 off, v[6:9], off offset:32 ; 16-byte Folded Spill
	s_waitcnt vmcnt(1)
	v_mul_f64 v[2:3], v[18:19], v[8:9]
	v_mul_f64 v[4:5], v[16:17], v[8:9]
	s_delay_alu instid0(VALU_DEP_2) | instskip(NEXT) | instid1(VALU_DEP_2)
	v_fma_f64 v[77:78], v[16:17], v[6:7], v[2:3]
	v_fma_f64 v[79:80], v[18:19], v[6:7], -v[4:5]
	global_load_b128 v[6:9], v[181:182], off offset:704
	s_waitcnt vmcnt(0)
	v_mul_f64 v[2:3], v[22:23], v[8:9]
	v_mul_f64 v[4:5], v[20:21], v[8:9]
	scratch_store_b128 off, v[6:9], off offset:48 ; 16-byte Folded Spill
	v_fma_f64 v[81:82], v[20:21], v[6:7], v[2:3]
	v_mad_u64_u32 v[2:3], null, 0xffffeed0, s12, v[0:1]
	v_fma_f64 v[83:84], v[22:23], v[6:7], -v[4:5]
	global_load_b128 v[6:9], v60, s[8:9] offset:400
	v_add_nc_u32_e32 v3, s4, v3
	global_load_b128 v[24:27], v[2:3], off
	s_waitcnt vmcnt(1)
	scratch_store_b128 off, v[6:9], off offset:64 ; 16-byte Folded Spill
	s_waitcnt vmcnt(0)
	v_mul_f64 v[0:1], v[26:27], v[8:9]
	v_mul_f64 v[4:5], v[24:25], v[8:9]
	s_delay_alu instid0(VALU_DEP_2) | instskip(SKIP_2) | instid1(VALU_DEP_4)
	v_fma_f64 v[85:86], v[24:25], v[6:7], v[0:1]
	v_add_co_u32 v0, vcc_lo, v2, s3
	v_add_co_ci_u32_e32 v1, vcc_lo, s2, v3, vcc_lo
	v_fma_f64 v[87:88], v[26:27], v[6:7], -v[4:5]
	global_load_b128 v[6:9], v60, s[8:9] offset:1600
	global_load_b128 v[28:31], v[0:1], off
	v_add_co_u32 v0, vcc_lo, v0, s3
	v_add_co_ci_u32_e32 v1, vcc_lo, s2, v1, vcc_lo
	global_load_b128 v[32:35], v[0:1], off
	v_add_co_u32 v0, vcc_lo, v0, s3
	v_add_co_ci_u32_e32 v1, vcc_lo, s2, v1, vcc_lo
	;; [unrolled: 3-line block ×3, first 2 shown]
	global_load_b128 v[40:43], v[0:1], off
	s_waitcnt vmcnt(4)
	scratch_store_b128 off, v[6:9], off offset:80 ; 16-byte Folded Spill
	s_waitcnt vmcnt(3)
	v_mul_f64 v[2:3], v[30:31], v[8:9]
	v_mul_f64 v[4:5], v[28:29], v[8:9]
	s_delay_alu instid0(VALU_DEP_2) | instskip(NEXT) | instid1(VALU_DEP_2)
	v_fma_f64 v[89:90], v[28:29], v[6:7], v[2:3]
	v_fma_f64 v[91:92], v[30:31], v[6:7], -v[4:5]
	global_load_b128 v[6:9], v60, s[8:9] offset:2800
	s_waitcnt vmcnt(0)
	v_mul_f64 v[2:3], v[34:35], v[8:9]
	v_mul_f64 v[4:5], v[32:33], v[8:9]
	scratch_store_b128 off, v[6:9], off offset:96 ; 16-byte Folded Spill
	v_fma_f64 v[93:94], v[32:33], v[6:7], v[2:3]
	v_fma_f64 v[95:96], v[34:35], v[6:7], -v[4:5]
	global_load_b128 v[6:9], v60, s[8:9] offset:4000
	s_waitcnt vmcnt(0)
	v_mul_f64 v[2:3], v[38:39], v[8:9]
	v_mul_f64 v[4:5], v[36:37], v[8:9]
	scratch_store_b128 off, v[6:9], off offset:112 ; 16-byte Folded Spill
	v_fma_f64 v[97:98], v[36:37], v[6:7], v[2:3]
	v_fma_f64 v[99:100], v[38:39], v[6:7], -v[4:5]
	global_load_b128 v[6:9], v[181:182], off offset:1104
	s_waitcnt vmcnt(0)
	v_mul_f64 v[2:3], v[42:43], v[8:9]
	v_mul_f64 v[4:5], v[40:41], v[8:9]
	scratch_store_b128 off, v[6:9], off offset:128 ; 16-byte Folded Spill
	v_fma_f64 v[101:102], v[40:41], v[6:7], v[2:3]
	v_mad_u64_u32 v[2:3], null, 0xffffeed0, s12, v[0:1]
	v_fma_f64 v[103:104], v[42:43], v[6:7], -v[4:5]
	global_load_b128 v[6:9], v60, s[8:9] offset:800
	s_mov_b32 s12, 0x372fe950
	s_mov_b32 s13, 0x3fd3c6ef
	v_add_nc_u32_e32 v3, s4, v3
	global_load_b128 v[44:47], v[2:3], off
	s_waitcnt vmcnt(1)
	scratch_store_b128 off, v[6:9], off offset:144 ; 16-byte Folded Spill
	s_waitcnt vmcnt(0)
	v_mul_f64 v[0:1], v[46:47], v[8:9]
	v_mul_f64 v[4:5], v[44:45], v[8:9]
	s_delay_alu instid0(VALU_DEP_2) | instskip(SKIP_2) | instid1(VALU_DEP_4)
	v_fma_f64 v[105:106], v[44:45], v[6:7], v[0:1]
	v_add_co_u32 v0, vcc_lo, v2, s3
	v_add_co_ci_u32_e32 v1, vcc_lo, s2, v3, vcc_lo
	v_fma_f64 v[107:108], v[46:47], v[6:7], -v[4:5]
	global_load_b128 v[6:9], v60, s[8:9] offset:2000
	global_load_b128 v[48:51], v[0:1], off
	v_add_co_u32 v0, vcc_lo, v0, s3
	v_add_co_ci_u32_e32 v1, vcc_lo, s2, v1, vcc_lo
	global_load_b128 v[52:55], v[0:1], off
	v_add_co_u32 v0, vcc_lo, v0, s3
	v_add_co_ci_u32_e32 v1, vcc_lo, s2, v1, vcc_lo
	;; [unrolled: 3-line block ×3, first 2 shown]
	s_mov_b32 s2, 0x4755a5e
	s_mov_b32 s3, 0x3fe2cf23
	s_waitcnt vmcnt(3)
	scratch_store_b128 off, v[6:9], off offset:160 ; 16-byte Folded Spill
	s_waitcnt vmcnt(2)
	v_mul_f64 v[2:3], v[50:51], v[8:9]
	v_mul_f64 v[4:5], v[48:49], v[8:9]
	s_delay_alu instid0(VALU_DEP_2) | instskip(NEXT) | instid1(VALU_DEP_2)
	v_fma_f64 v[109:110], v[48:49], v[6:7], v[2:3]
	v_fma_f64 v[111:112], v[50:51], v[6:7], -v[4:5]
	global_load_b128 v[6:9], v60, s[8:9] offset:3200
	s_mov_b32 s9, 0xbfe2cf23
	s_mov_b32 s8, s2
	s_waitcnt vmcnt(0)
	v_mul_f64 v[2:3], v[54:55], v[8:9]
	v_mul_f64 v[4:5], v[52:53], v[8:9]
	scratch_store_b128 off, v[6:9], off offset:176 ; 16-byte Folded Spill
	v_fma_f64 v[113:114], v[52:53], v[6:7], v[2:3]
	v_fma_f64 v[115:116], v[54:55], v[6:7], -v[4:5]
	global_load_b128 v[6:9], v[181:182], off offset:304
	s_waitcnt vmcnt(0)
	v_mul_f64 v[2:3], v[58:59], v[8:9]
	v_mul_f64 v[4:5], v[56:57], v[8:9]
	scratch_store_b128 off, v[6:9], off offset:192 ; 16-byte Folded Spill
	v_fma_f64 v[117:118], v[56:57], v[6:7], v[2:3]
	v_fma_f64 v[119:120], v[58:59], v[6:7], -v[4:5]
	global_load_b128 v[121:124], v[0:1], off
	global_load_b128 v[4:7], v[181:182], off offset:1504
	s_waitcnt vmcnt(0)
	v_mul_f64 v[0:1], v[123:124], v[6:7]
	v_mul_f64 v[2:3], v[121:122], v[6:7]
	scratch_store_b128 off, v[4:7], off offset:208 ; 16-byte Folded Spill
	v_fma_f64 v[121:122], v[121:122], v[4:5], v[0:1]
	v_mul_hi_u32 v0, 0xcccccccd, v180
	v_fma_f64 v[123:124], v[123:124], v[4:5], -v[2:3]
	s_delay_alu instid0(VALU_DEP_2) | instskip(NEXT) | instid1(VALU_DEP_1)
	v_lshrrev_b32_e32 v0, 2, v0
	v_lshl_add_u32 v0, v0, 2, v0
	s_delay_alu instid0(VALU_DEP_1) | instskip(NEXT) | instid1(VALU_DEP_1)
	v_sub_nc_u32_e32 v0, v180, v0
	v_mul_u32_u24_e32 v0, 0x177, v0
	s_delay_alu instid0(VALU_DEP_1) | instskip(NEXT) | instid1(VALU_DEP_1)
	v_lshlrev_b32_e32 v144, 4, v0
	v_add_nc_u32_e32 v184, v60, v144
	ds_store_b128 v184, v[65:68]
	ds_store_b128 v184, v[69:72] offset:1200
	ds_store_b128 v184, v[73:76] offset:2400
	;; [unrolled: 1-line block ×14, first 2 shown]
	s_load_b128 s[4:7], s[6:7], 0x0
	s_waitcnt lgkmcnt(0)
	s_waitcnt_vscnt null, 0x0
	s_barrier
	buffer_gl0_inv
	ds_load_b128 v[60:63], v184
	ds_load_b128 v[65:68], v184 offset:1200
	ds_load_b128 v[69:72], v184 offset:4800
	;; [unrolled: 1-line block ×3, first 2 shown]
	s_waitcnt lgkmcnt(2)
	v_add_f64 v[0:1], v[60:61], v[65:66]
	v_add_f64 v[2:3], v[62:63], v[67:68]
	s_waitcnt lgkmcnt(1)
	v_add_f64 v[4:5], v[65:66], v[69:70]
	v_add_f64 v[6:7], v[67:68], -v[71:72]
	v_add_f64 v[8:9], v[67:68], v[71:72]
	s_waitcnt lgkmcnt(0)
	v_add_f64 v[10:11], v[65:66], -v[73:74]
	v_add_f64 v[12:13], v[73:74], -v[65:66]
	;; [unrolled: 1-line block ×5, first 2 shown]
	ds_load_b128 v[65:68], v184 offset:3600
	s_waitcnt lgkmcnt(0)
	v_add_f64 v[20:21], v[73:74], v[65:66]
	v_add_f64 v[22:23], v[75:76], v[67:68]
	v_add_f64 v[93:94], v[75:76], -v[67:68]
	v_add_f64 v[95:96], v[73:74], -v[65:66]
	;; [unrolled: 1-line block ×6, first 2 shown]
	v_add_f64 v[0:1], v[0:1], v[73:74]
	v_add_f64 v[2:3], v[2:3], v[75:76]
	v_fma_f64 v[8:9], v[8:9], -0.5, v[62:63]
	v_add_f64 v[10:11], v[10:11], v[97:98]
	v_add_f64 v[16:17], v[16:17], v[101:102]
	;; [unrolled: 1-line block ×4, first 2 shown]
	s_delay_alu instid0(VALU_DEP_2) | instskip(NEXT) | instid1(VALU_DEP_2)
	v_add_f64 v[65:66], v[0:1], v[69:70]
	v_add_f64 v[67:68], v[2:3], v[71:72]
	ds_load_b128 v[69:72], v184 offset:1600
	ds_load_b128 v[73:76], v184 offset:400
	ds_load_b128 v[77:80], v184 offset:5200
	ds_load_b128 v[81:84], v184 offset:2800
	s_waitcnt lgkmcnt(2)
	v_add_f64 v[0:1], v[73:74], v[69:70]
	v_add_f64 v[2:3], v[75:76], v[71:72]
	s_waitcnt lgkmcnt(1)
	v_add_f64 v[105:106], v[69:70], v[77:78]
	v_add_f64 v[107:108], v[71:72], v[79:80]
	v_add_f64 v[109:110], v[71:72], -v[79:80]
	s_waitcnt lgkmcnt(0)
	v_add_f64 v[111:112], v[69:70], -v[81:82]
	v_add_f64 v[113:114], v[81:82], -v[69:70]
	;; [unrolled: 1-line block ×5, first 2 shown]
	ds_load_b128 v[69:72], v184 offset:4000
	s_waitcnt lgkmcnt(0)
	v_add_f64 v[121:122], v[81:82], v[69:70]
	v_add_f64 v[123:124], v[83:84], v[71:72]
	v_add_f64 v[125:126], v[83:84], -v[71:72]
	v_add_f64 v[127:128], v[81:82], -v[69:70]
	;; [unrolled: 1-line block ×6, first 2 shown]
	v_add_f64 v[0:1], v[0:1], v[81:82]
	v_add_f64 v[2:3], v[2:3], v[83:84]
	v_fma_f64 v[107:108], v[107:108], -0.5, v[75:76]
	s_delay_alu instid0(VALU_DEP_3) | instskip(NEXT) | instid1(VALU_DEP_3)
	v_add_f64 v[0:1], v[0:1], v[69:70]
	v_add_f64 v[2:3], v[2:3], v[71:72]
	s_delay_alu instid0(VALU_DEP_2) | instskip(NEXT) | instid1(VALU_DEP_2)
	v_add_f64 v[69:70], v[0:1], v[77:78]
	v_add_f64 v[71:72], v[2:3], v[79:80]
	ds_load_b128 v[77:80], v184 offset:2000
	ds_load_b128 v[81:84], v184 offset:800
	;; [unrolled: 1-line block ×4, first 2 shown]
	s_waitcnt lgkmcnt(2)
	v_add_f64 v[2:3], v[83:84], v[79:80]
	v_add_f64 v[0:1], v[81:82], v[77:78]
	s_waitcnt lgkmcnt(1)
	v_add_f64 v[137:138], v[77:78], v[85:86]
	v_add_f64 v[139:140], v[79:80], v[87:88]
	v_add_f64 v[141:142], v[79:80], -v[87:88]
	s_waitcnt lgkmcnt(0)
	v_add_f64 v[145:146], v[77:78], -v[89:90]
	v_add_f64 v[147:148], v[77:78], -v[85:86]
	;; [unrolled: 1-line block ×5, first 2 shown]
	ds_load_b128 v[77:80], v184 offset:4400
	s_waitcnt lgkmcnt(0)
	s_barrier
	buffer_gl0_inv
	v_add_f64 v[157:158], v[91:92], v[79:80]
	v_add_f64 v[159:160], v[91:92], -v[79:80]
	v_add_f64 v[167:168], v[87:88], -v[79:80]
	;; [unrolled: 1-line block ×3, first 2 shown]
	v_add_f64 v[155:156], v[89:90], v[77:78]
	v_add_f64 v[161:162], v[89:90], -v[77:78]
	v_add_f64 v[163:164], v[85:86], -v[77:78]
	;; [unrolled: 1-line block ×3, first 2 shown]
	v_add_f64 v[2:3], v[2:3], v[91:92]
	v_add_f64 v[0:1], v[0:1], v[89:90]
	v_fma_f64 v[139:140], v[139:140], -0.5, v[83:84]
	s_delay_alu instid0(VALU_DEP_3) | instskip(NEXT) | instid1(VALU_DEP_3)
	v_add_f64 v[2:3], v[2:3], v[79:80]
	v_add_f64 v[0:1], v[0:1], v[77:78]
	s_delay_alu instid0(VALU_DEP_2) | instskip(SKIP_2) | instid1(VALU_DEP_4)
	v_add_f64 v[79:80], v[2:3], v[87:88]
	v_fma_f64 v[2:3], v[4:5], -0.5, v[60:61]
	v_fma_f64 v[4:5], v[22:23], -0.5, v[62:63]
	v_add_f64 v[77:78], v[0:1], v[85:86]
	v_fma_f64 v[0:1], v[20:21], -0.5, v[60:61]
	v_fma_f64 v[22:23], v[105:106], -0.5, v[73:74]
	;; [unrolled: 1-line block ×7, first 2 shown]
	v_add_co_u32 v156, null, v183, 50
	v_fma_f64 v[62:63], v[14:15], s[16:17], v[4:5]
	v_fma_f64 v[4:5], v[14:15], s[14:15], v[4:5]
	;; [unrolled: 1-line block ×4, first 2 shown]
	s_delay_alu instid0(VALU_DEP_4) | instskip(NEXT) | instid1(VALU_DEP_4)
	v_fma_f64 v[62:63], v[95:96], s[8:9], v[62:63]
	v_fma_f64 v[4:5], v[95:96], s[2:3], v[4:5]
	s_delay_alu instid0(VALU_DEP_4) | instskip(NEXT) | instid1(VALU_DEP_4)
	v_fma_f64 v[60:61], v[93:94], s[2:3], v[60:61]
	v_fma_f64 v[0:1], v[93:94], s[8:9], v[0:1]
	s_delay_alu instid0(VALU_DEP_4) | instskip(NEXT) | instid1(VALU_DEP_4)
	v_fma_f64 v[62:63], v[16:17], s[12:13], v[62:63]
	v_fma_f64 v[75:76], v[16:17], s[12:13], v[4:5]
	v_fma_f64 v[4:5], v[95:96], s[14:15], v[8:9]
	s_delay_alu instid0(VALU_DEP_4)
	v_fma_f64 v[73:74], v[10:11], s[12:13], v[0:1]
	v_fma_f64 v[0:1], v[93:94], s[16:17], v[2:3]
	;; [unrolled: 1-line block ×5, first 2 shown]
	v_add_f64 v[10:11], v[12:13], v[99:100]
	v_add_f64 v[12:13], v[18:19], v[103:104]
	v_fma_f64 v[4:5], v[14:15], s[8:9], v[4:5]
	v_fma_f64 v[0:1], v[6:7], s[2:3], v[0:1]
	;; [unrolled: 1-line block ×4, first 2 shown]
	v_add_f64 v[8:9], v[113:114], v[131:132]
	v_fma_f64 v[83:84], v[12:13], s[12:13], v[4:5]
	v_fma_f64 v[4:5], v[109:110], s[14:15], v[20:21]
	;; [unrolled: 1-line block ×3, first 2 shown]
	v_add_f64 v[0:1], v[111:112], v[129:130]
	v_fma_f64 v[87:88], v[12:13], s[12:13], v[6:7]
	v_fma_f64 v[6:7], v[115:116], s[16:17], v[105:106]
	;; [unrolled: 1-line block ×3, first 2 shown]
	v_add_f64 v[2:3], v[117:118], v[133:134]
	v_add_f64 v[10:11], v[119:120], v[135:136]
	v_fma_f64 v[4:5], v[125:126], s[2:3], v[4:5]
	v_fma_f64 v[6:7], v[127:128], s[8:9], v[6:7]
	s_delay_alu instid0(VALU_DEP_2) | instskip(SKIP_1) | instid1(VALU_DEP_3)
	v_fma_f64 v[89:90], v[0:1], s[12:13], v[4:5]
	v_fma_f64 v[4:5], v[109:110], s[16:17], v[20:21]
	;; [unrolled: 1-line block ×4, first 2 shown]
	s_delay_alu instid0(VALU_DEP_3) | instskip(NEXT) | instid1(VALU_DEP_2)
	v_fma_f64 v[4:5], v[125:126], s[8:9], v[4:5]
	v_fma_f64 v[6:7], v[127:128], s[2:3], v[6:7]
	s_delay_alu instid0(VALU_DEP_2) | instskip(SKIP_2) | instid1(VALU_DEP_4)
	v_fma_f64 v[93:94], v[0:1], s[12:13], v[4:5]
	v_fma_f64 v[4:5], v[127:128], s[14:15], v[107:108]
	v_fma_f64 v[0:1], v[125:126], s[16:17], v[22:23]
	v_fma_f64 v[95:96], v[2:3], s[12:13], v[6:7]
	v_fma_f64 v[6:7], v[127:128], s[16:17], v[107:108]
	v_fma_f64 v[2:3], v[125:126], s[14:15], v[22:23]
	v_and_b32_e32 v128, 0xff, v156
	v_fma_f64 v[4:5], v[115:116], s[8:9], v[4:5]
	v_fma_f64 v[0:1], v[109:110], s[2:3], v[0:1]
	;; [unrolled: 1-line block ×4, first 2 shown]
	s_delay_alu instid0(VALU_DEP_4)
	v_fma_f64 v[99:100], v[10:11], s[12:13], v[4:5]
	v_fma_f64 v[4:5], v[159:160], s[16:17], v[123:124]
	;; [unrolled: 1-line block ×3, first 2 shown]
	v_add_f64 v[0:1], v[149:150], v[165:166]
	v_fma_f64 v[103:104], v[10:11], s[12:13], v[6:7]
	v_fma_f64 v[6:7], v[161:162], s[14:15], v[139:140]
	;; [unrolled: 1-line block ×3, first 2 shown]
	v_add_f64 v[2:3], v[153:154], v[169:170]
	v_add_f64 v[8:9], v[145:146], v[163:164]
	;; [unrolled: 1-line block ×3, first 2 shown]
	v_fma_f64 v[4:5], v[141:142], s[2:3], v[4:5]
	v_fma_f64 v[6:7], v[147:148], s[8:9], v[6:7]
	s_delay_alu instid0(VALU_DEP_2) | instskip(SKIP_1) | instid1(VALU_DEP_3)
	v_fma_f64 v[105:106], v[0:1], s[12:13], v[4:5]
	v_fma_f64 v[4:5], v[159:160], s[14:15], v[123:124]
	;; [unrolled: 1-line block ×4, first 2 shown]
	s_delay_alu instid0(VALU_DEP_3) | instskip(NEXT) | instid1(VALU_DEP_2)
	v_fma_f64 v[4:5], v[141:142], s[8:9], v[4:5]
	v_fma_f64 v[6:7], v[147:148], s[2:3], v[6:7]
	s_delay_alu instid0(VALU_DEP_2) | instskip(SKIP_2) | instid1(VALU_DEP_4)
	v_fma_f64 v[109:110], v[0:1], s[12:13], v[4:5]
	v_fma_f64 v[0:1], v[141:142], s[14:15], v[121:122]
	;; [unrolled: 1-line block ×6, first 2 shown]
	v_add_co_u32 v148, null, v183, 25
	s_delay_alu instid0(VALU_DEP_1) | instskip(NEXT) | instid1(VALU_DEP_1)
	v_and_b32_e32 v16, 0xff, v148
	v_mul_lo_u16 v16, 0xcd, v16
	s_delay_alu instid0(VALU_DEP_1) | instskip(NEXT) | instid1(VALU_DEP_1)
	v_lshrrev_b16 v124, 10, v16
	v_mul_lo_u16 v16, v124, 5
	s_delay_alu instid0(VALU_DEP_1) | instskip(NEXT) | instid1(VALU_DEP_1)
	v_sub_nc_u16 v16, v148, v16
	v_and_b32_e32 v125, 0xff, v16
	v_fma_f64 v[0:1], v[159:160], s[2:3], v[0:1]
	v_fma_f64 v[4:5], v[161:162], s[8:9], v[4:5]
	s_delay_alu instid0(VALU_DEP_3)
	v_lshlrev_b32_e32 v24, 6, v125
	v_fma_f64 v[2:3], v[159:160], s[8:9], v[2:3]
	v_fma_f64 v[6:7], v[161:162], s[2:3], v[6:7]
	v_fma_f64 v[113:114], v[8:9], s[12:13], v[0:1]
	v_mul_lo_u16 v0, v64, 5
	v_fma_f64 v[115:116], v[10:11], s[12:13], v[4:5]
	v_fma_f64 v[117:118], v[8:9], s[12:13], v[2:3]
	;; [unrolled: 1-line block ×3, first 2 shown]
	s_delay_alu instid0(VALU_DEP_4) | instskip(NEXT) | instid1(VALU_DEP_1)
	v_and_b32_e32 v0, 0xffff, v0
	v_lshl_add_u32 v189, v0, 4, v144
	v_mul_u32_u24_e32 v0, 5, v148
	ds_store_b128 v189, v[65:68]
	ds_store_b128 v189, v[60:63] offset:16
	ds_store_b128 v189, v[81:84] offset:32
	;; [unrolled: 1-line block ×4, first 2 shown]
	v_lshl_add_u32 v188, v0, 4, v144
	v_mul_u32_u24_e32 v0, 5, v156
	ds_store_b128 v188, v[69:72]
	ds_store_b128 v188, v[89:92] offset:16
	ds_store_b128 v188, v[97:100] offset:32
	ds_store_b128 v188, v[101:104] offset:48
	ds_store_b128 v188, v[93:96] offset:64
	v_lshl_add_u32 v187, v0, 4, v144
	v_and_b32_e32 v0, 0xff, v64
	ds_store_b128 v187, v[77:80]
	ds_store_b128 v187, v[113:116] offset:16
	ds_store_b128 v187, v[105:108] offset:32
	ds_store_b128 v187, v[109:112] offset:48
	ds_store_b128 v187, v[117:120] offset:64
	v_mul_lo_u16 v0, 0xcd, v0
	s_waitcnt lgkmcnt(0)
	s_barrier
	buffer_gl0_inv
	ds_load_b128 v[96:99], v184 offset:2000
	v_lshrrev_b16 v129, 10, v0
	global_load_b128 v[76:79], v24, s[10:11]
	v_mul_lo_u16 v0, v129, 5
	s_delay_alu instid0(VALU_DEP_1) | instskip(SKIP_2) | instid1(VALU_DEP_1)
	v_sub_nc_u16 v130, v64, v0
	ds_load_b128 v[64:67], v184 offset:1200
	v_lshlrev_b16 v0, 2, v130
	v_and_b32_e32 v0, 0xfc, v0
	s_delay_alu instid0(VALU_DEP_1)
	v_lshlrev_b32_e32 v12, 4, v0
	s_clause 0x3
	global_load_b128 v[2:5], v12, s[10:11]
	global_load_b128 v[108:111], v12, s[10:11] offset:16
	global_load_b128 v[92:95], v12, s[10:11] offset:32
	;; [unrolled: 1-line block ×3, first 2 shown]
	s_waitcnt vmcnt(3) lgkmcnt(0)
	v_mul_f64 v[0:1], v[66:67], v[4:5]
	v_mov_b32_e32 v7, v5
	v_dual_mov_b32 v6, v4 :: v_dual_mov_b32 v5, v3
	v_mov_b32_e32 v4, v2
	ds_load_b128 v[72:75], v184 offset:4000
	ds_load_b128 v[68:71], v184 offset:2800
	v_mul_f64 v[2:3], v[64:65], v[6:7]
	ds_load_b128 v[131:134], v184 offset:5600
	scratch_store_b128 off, v[4:7], off offset:240 ; 16-byte Folded Spill
	ds_load_b128 v[190:193], v184 offset:800
	v_fma_f64 v[0:1], v[64:65], v[4:5], -v[0:1]
	v_fma_f64 v[2:3], v[66:67], v[4:5], v[2:3]
	ds_load_b128 v[64:67], v184 offset:2400
	s_waitcnt vmcnt(2) lgkmcnt(0)
	v_mul_f64 v[4:5], v[66:67], v[110:111]
	v_mul_f64 v[6:7], v[64:65], v[110:111]
	s_delay_alu instid0(VALU_DEP_2) | instskip(NEXT) | instid1(VALU_DEP_2)
	v_fma_f64 v[4:5], v[64:65], v[108:109], -v[4:5]
	v_fma_f64 v[6:7], v[66:67], v[108:109], v[6:7]
	ds_load_b128 v[64:67], v184 offset:3600
	s_waitcnt vmcnt(1) lgkmcnt(0)
	v_mul_f64 v[8:9], v[66:67], v[94:95]
	v_mul_f64 v[10:11], v[64:65], v[94:95]
	s_delay_alu instid0(VALU_DEP_2) | instskip(NEXT) | instid1(VALU_DEP_2)
	v_fma_f64 v[8:9], v[64:65], v[92:93], -v[8:9]
	v_fma_f64 v[10:11], v[66:67], v[92:93], v[10:11]
	ds_load_b128 v[64:67], v184 offset:4800
	s_waitcnt vmcnt(0) lgkmcnt(0)
	v_mul_f64 v[12:13], v[66:67], v[82:83]
	v_mul_f64 v[14:15], v[64:65], v[82:83]
	v_add_f64 v[135:136], v[4:5], v[8:9]
	v_add_f64 v[159:160], v[6:7], -v[10:11]
	v_add_f64 v[163:164], v[4:5], -v[8:9]
	v_fma_f64 v[12:13], v[64:65], v[80:81], -v[12:13]
	v_fma_f64 v[14:15], v[66:67], v[80:81], v[14:15]
	ds_load_b128 v[64:67], v184 offset:1600
	s_waitcnt lgkmcnt(0)
	v_mul_f64 v[16:17], v[66:67], v[78:79]
	v_mul_f64 v[18:19], v[64:65], v[78:79]
	v_add_f64 v[161:162], v[0:1], -v[12:13]
	v_add_f64 v[157:158], v[2:3], -v[14:15]
	s_delay_alu instid0(VALU_DEP_4) | instskip(NEXT) | instid1(VALU_DEP_4)
	v_fma_f64 v[16:17], v[64:65], v[76:77], -v[16:17]
	v_fma_f64 v[18:19], v[66:67], v[76:77], v[18:19]
	global_load_b128 v[64:67], v24, s[10:11] offset:16
	s_waitcnt vmcnt(0)
	v_mul_f64 v[20:21], v[70:71], v[66:67]
	v_mul_f64 v[22:23], v[68:69], v[66:67]
	s_delay_alu instid0(VALU_DEP_2) | instskip(NEXT) | instid1(VALU_DEP_2)
	v_fma_f64 v[20:21], v[68:69], v[64:65], -v[20:21]
	v_fma_f64 v[22:23], v[70:71], v[64:65], v[22:23]
	global_load_b128 v[68:71], v24, s[10:11] offset:32
	s_waitcnt vmcnt(0)
	v_mul_f64 v[84:85], v[74:75], v[70:71]
	s_delay_alu instid0(VALU_DEP_1)
	v_fma_f64 v[145:146], v[72:73], v[68:69], -v[84:85]
	v_mul_f64 v[72:73], v[72:73], v[70:71]
	ds_load_b128 v[84:87], v184 offset:5200
	v_add_f64 v[177:178], v[20:21], -v[145:146]
	v_fma_f64 v[153:154], v[74:75], v[68:69], v[72:73]
	global_load_b128 v[72:75], v24, s[10:11] offset:48
	v_mul_lo_u16 v24, 0xcd, v128
	s_delay_alu instid0(VALU_DEP_1) | instskip(NEXT) | instid1(VALU_DEP_1)
	v_lshrrev_b16 v126, 10, v24
	v_mul_lo_u16 v24, v126, 5
	s_delay_alu instid0(VALU_DEP_1) | instskip(NEXT) | instid1(VALU_DEP_1)
	v_sub_nc_u16 v24, v156, v24
	v_and_b32_e32 v127, 0xff, v24
	s_delay_alu instid0(VALU_DEP_1) | instskip(SKIP_3) | instid1(VALU_DEP_1)
	v_lshlrev_b32_e32 v24, 6, v127
	global_load_b128 v[100:103], v24, s[10:11] offset:16
	s_waitcnt vmcnt(1) lgkmcnt(0)
	v_mul_f64 v[88:89], v[86:87], v[74:75]
	v_fma_f64 v[173:174], v[84:85], v[72:73], -v[88:89]
	global_load_b128 v[88:91], v24, s[10:11]
	v_mul_f64 v[84:85], v[84:85], v[74:75]
	s_delay_alu instid0(VALU_DEP_1) | instskip(SKIP_2) | instid1(VALU_DEP_1)
	v_fma_f64 v[175:176], v[86:87], v[72:73], v[84:85]
	s_waitcnt vmcnt(0)
	v_mul_f64 v[84:85], v[98:99], v[90:91]
	v_fma_f64 v[86:87], v[96:97], v[88:89], -v[84:85]
	v_mul_f64 v[84:85], v[96:97], v[90:91]
	s_delay_alu instid0(VALU_DEP_1) | instskip(SKIP_3) | instid1(VALU_DEP_1)
	v_fma_f64 v[84:85], v[98:99], v[88:89], v[84:85]
	ds_load_b128 v[96:99], v184 offset:3200
	s_waitcnt lgkmcnt(0)
	v_mul_f64 v[104:105], v[98:99], v[102:103]
	v_fma_f64 v[112:113], v[96:97], v[100:101], -v[104:105]
	v_mul_f64 v[96:97], v[96:97], v[102:103]
	ds_load_b128 v[104:107], v184 offset:4400
	v_fma_f64 v[114:115], v[98:99], v[100:101], v[96:97]
	global_load_b128 v[96:99], v24, s[10:11] offset:32
	s_waitcnt vmcnt(0) lgkmcnt(0)
	v_mul_f64 v[116:117], v[106:107], v[98:99]
	s_delay_alu instid0(VALU_DEP_1) | instskip(SKIP_1) | instid1(VALU_DEP_1)
	v_fma_f64 v[116:117], v[104:105], v[96:97], -v[116:117]
	v_mul_f64 v[104:105], v[104:105], v[98:99]
	v_fma_f64 v[118:119], v[106:107], v[96:97], v[104:105]
	global_load_b128 v[104:107], v24, s[10:11] offset:48
	v_mul_lo_u16 v24, v128, 41
	s_delay_alu instid0(VALU_DEP_1) | instskip(NEXT) | instid1(VALU_DEP_1)
	v_lshrrev_b16 v24, 10, v24
	v_mul_lo_u16 v24, v24, 25
	s_delay_alu instid0(VALU_DEP_1) | instskip(SKIP_3) | instid1(VALU_DEP_2)
	v_sub_nc_u16 v24, v156, v24
	s_waitcnt vmcnt(0)
	v_mul_f64 v[120:121], v[133:134], v[106:107]
	v_mul_f64 v[122:123], v[131:132], v[106:107]
	v_fma_f64 v[120:121], v[131:132], v[104:105], -v[120:121]
	s_delay_alu instid0(VALU_DEP_2) | instskip(SKIP_2) | instid1(VALU_DEP_1)
	v_fma_f64 v[122:123], v[133:134], v[104:105], v[122:123]
	v_add_f64 v[131:132], v[0:1], -v[4:5]
	v_add_f64 v[133:134], v[12:13], -v[8:9]
	v_add_f64 v[139:140], v[131:132], v[133:134]
	v_add_f64 v[131:132], v[2:3], -v[6:7]
	v_add_f64 v[133:134], v[14:15], -v[10:11]
	s_delay_alu instid0(VALU_DEP_1) | instskip(SKIP_4) | instid1(VALU_DEP_1)
	v_add_f64 v[141:142], v[131:132], v[133:134]
	ds_load_b128 v[131:134], v184
	s_waitcnt lgkmcnt(0)
	v_fma_f64 v[149:150], v[135:136], -0.5, v[131:132]
	v_add_f64 v[135:136], v[6:7], v[10:11]
	v_fma_f64 v[151:152], v[135:136], -0.5, v[133:134]
	s_delay_alu instid0(VALU_DEP_3) | instskip(SKIP_1) | instid1(VALU_DEP_3)
	v_fma_f64 v[135:136], v[157:158], s[14:15], v[149:150]
	v_fma_f64 v[149:150], v[157:158], s[16:17], v[149:150]
	;; [unrolled: 1-line block ×4, first 2 shown]
	s_delay_alu instid0(VALU_DEP_4) | instskip(NEXT) | instid1(VALU_DEP_4)
	v_fma_f64 v[135:136], v[159:160], s[2:3], v[135:136]
	v_fma_f64 v[149:150], v[159:160], s[8:9], v[149:150]
	s_delay_alu instid0(VALU_DEP_4) | instskip(NEXT) | instid1(VALU_DEP_4)
	v_fma_f64 v[137:138], v[163:164], s[8:9], v[137:138]
	v_fma_f64 v[151:152], v[163:164], s[2:3], v[151:152]
	;; [unrolled: 3-line block ×3, first 2 shown]
	v_add_f64 v[149:150], v[0:1], v[12:13]
	v_fma_f64 v[137:138], v[141:142], s[12:13], v[137:138]
	v_fma_f64 v[141:142], v[141:142], s[12:13], v[151:152]
	v_add_f64 v[151:152], v[2:3], v[14:15]
	s_delay_alu instid0(VALU_DEP_4) | instskip(SKIP_2) | instid1(VALU_DEP_4)
	v_fma_f64 v[149:150], v[149:150], -0.5, v[131:132]
	v_add_f64 v[131:132], v[131:132], v[0:1]
	v_add_f64 v[0:1], v[4:5], -v[0:1]
	v_fma_f64 v[151:152], v[151:152], -0.5, v[133:134]
	v_add_f64 v[133:134], v[133:134], v[2:3]
	v_add_f64 v[2:3], v[6:7], -v[2:3]
	v_add_f64 v[4:5], v[131:132], v[4:5]
	s_delay_alu instid0(VALU_DEP_3) | instskip(NEXT) | instid1(VALU_DEP_2)
	v_add_f64 v[131:132], v[133:134], v[6:7]
	v_add_f64 v[4:5], v[4:5], v[8:9]
	v_add_f64 v[8:9], v[8:9], -v[12:13]
	s_delay_alu instid0(VALU_DEP_3) | instskip(NEXT) | instid1(VALU_DEP_3)
	v_add_f64 v[6:7], v[131:132], v[10:11]
	v_add_f64 v[131:132], v[4:5], v[12:13]
	v_add_f64 v[4:5], v[10:11], -v[14:15]
	v_fma_f64 v[10:11], v[159:160], s[14:15], v[149:150]
	v_fma_f64 v[12:13], v[163:164], s[14:15], v[151:152]
	v_add_f64 v[0:1], v[0:1], v[8:9]
	v_add_f64 v[133:134], v[6:7], v[14:15]
	v_fma_f64 v[6:7], v[159:160], s[16:17], v[149:150]
	v_fma_f64 v[14:15], v[163:164], s[16:17], v[151:152]
	v_add_f64 v[2:3], v[2:3], v[4:5]
	v_fma_f64 v[8:9], v[161:162], s[8:9], v[12:13]
	s_delay_alu instid0(VALU_DEP_4)
	v_fma_f64 v[4:5], v[157:158], s[2:3], v[6:7]
	v_fma_f64 v[6:7], v[157:158], s[8:9], v[10:11]
	;; [unrolled: 1-line block ×3, first 2 shown]
	ds_load_b128 v[161:164], v184 offset:400
	v_fma_f64 v[151:152], v[2:3], s[12:13], v[8:9]
	v_add_f64 v[8:9], v[18:19], -v[175:176]
	v_add_f64 v[14:15], v[16:17], -v[173:174]
	s_waitcnt lgkmcnt(0)
	s_waitcnt_vscnt null, 0x0
	s_barrier
	buffer_gl0_inv
	v_fma_f64 v[149:150], v[0:1], s[12:13], v[4:5]
	v_fma_f64 v[157:158], v[0:1], s[12:13], v[6:7]
	v_fma_f64 v[159:160], v[2:3], s[12:13], v[10:11]
	v_add_f64 v[0:1], v[16:17], -v[20:21]
	v_add_f64 v[2:3], v[173:174], -v[145:146]
	;; [unrolled: 1-line block ×3, first 2 shown]
	v_add_f64 v[6:7], v[22:23], v[153:154]
	v_add_f64 v[10:11], v[22:23], -v[153:154]
	s_delay_alu instid0(VALU_DEP_4) | instskip(SKIP_1) | instid1(VALU_DEP_4)
	v_add_f64 v[0:1], v[0:1], v[2:3]
	v_add_f64 v[2:3], v[18:19], -v[22:23]
	v_fma_f64 v[6:7], v[6:7], -0.5, v[163:164]
	s_delay_alu instid0(VALU_DEP_2) | instskip(SKIP_1) | instid1(VALU_DEP_3)
	v_add_f64 v[2:3], v[2:3], v[4:5]
	v_add_f64 v[4:5], v[20:21], v[145:146]
	v_fma_f64 v[165:166], v[14:15], s[16:17], v[6:7]
	v_fma_f64 v[6:7], v[14:15], s[14:15], v[6:7]
	s_delay_alu instid0(VALU_DEP_3) | instskip(NEXT) | instid1(VALU_DEP_3)
	v_fma_f64 v[4:5], v[4:5], -0.5, v[161:162]
	v_fma_f64 v[167:168], v[177:178], s[8:9], v[165:166]
	s_delay_alu instid0(VALU_DEP_3) | instskip(NEXT) | instid1(VALU_DEP_3)
	v_fma_f64 v[6:7], v[177:178], s[2:3], v[6:7]
	v_fma_f64 v[12:13], v[8:9], s[14:15], v[4:5]
	;; [unrolled: 1-line block ×3, first 2 shown]
	s_delay_alu instid0(VALU_DEP_3)
	v_fma_f64 v[171:172], v[2:3], s[12:13], v[6:7]
	v_add_f64 v[6:7], v[163:164], v[18:19]
	v_fma_f64 v[167:168], v[2:3], s[12:13], v[167:168]
	v_add_f64 v[2:3], v[18:19], v[175:176]
	v_fma_f64 v[12:13], v[10:11], s[2:3], v[12:13]
	v_fma_f64 v[4:5], v[10:11], s[8:9], v[4:5]
	v_add_f64 v[6:7], v[6:7], v[22:23]
	s_delay_alu instid0(VALU_DEP_4) | instskip(NEXT) | instid1(VALU_DEP_4)
	v_fma_f64 v[2:3], v[2:3], -0.5, v[163:164]
	v_fma_f64 v[165:166], v[0:1], s[12:13], v[12:13]
	s_delay_alu instid0(VALU_DEP_4)
	v_fma_f64 v[169:170], v[0:1], s[12:13], v[4:5]
	v_add_f64 v[4:5], v[161:162], v[16:17]
	v_add_f64 v[0:1], v[16:17], v[173:174]
	;; [unrolled: 1-line block ×3, first 2 shown]
	v_add_f64 v[12:13], v[20:21], -v[16:17]
	v_add_f64 v[16:17], v[22:23], -v[18:19]
	;; [unrolled: 1-line block ×3, first 2 shown]
	v_add_f64 v[4:5], v[4:5], v[20:21]
	v_fma_f64 v[0:1], v[0:1], -0.5, v[161:162]
	v_add_f64 v[163:164], v[6:7], v[175:176]
	v_add_f64 v[20:21], v[120:121], -v[116:117]
	v_add_f64 v[12:13], v[12:13], v[18:19]
	v_add_f64 v[4:5], v[4:5], v[145:146]
	v_fma_f64 v[6:7], v[10:11], s[16:17], v[0:1]
	v_fma_f64 v[0:1], v[10:11], s[14:15], v[0:1]
	v_fma_f64 v[10:11], v[177:178], s[14:15], v[2:3]
	v_fma_f64 v[2:3], v[177:178], s[16:17], v[2:3]
	v_and_b32_e32 v145, 0xff, v24
	s_delay_alu instid0(VALU_DEP_1)
	v_lshlrev_b32_e32 v24, 6, v145
	v_add_f64 v[161:162], v[4:5], v[173:174]
	v_add_f64 v[4:5], v[153:154], -v[175:176]
	v_fma_f64 v[0:1], v[8:9], s[8:9], v[0:1]
	v_fma_f64 v[6:7], v[8:9], s[2:3], v[6:7]
	;; [unrolled: 1-line block ×4, first 2 shown]
	v_add_f64 v[14:15], v[112:113], -v[116:117]
	v_add_f64 v[10:11], v[84:85], -v[122:123]
	v_add_f64 v[4:5], v[16:17], v[4:5]
	v_fma_f64 v[194:195], v[12:13], s[12:13], v[0:1]
	v_add_f64 v[0:1], v[112:113], -v[86:87]
	v_fma_f64 v[173:174], v[12:13], s[12:13], v[6:7]
	v_add_f64 v[6:7], v[84:85], v[122:123]
	v_add_f64 v[16:17], v[86:87], -v[120:121]
	v_fma_f64 v[196:197], v[4:5], s[12:13], v[2:3]
	v_add_f64 v[2:3], v[116:117], -v[120:121]
	v_fma_f64 v[175:176], v[4:5], s[12:13], v[8:9]
	v_add_f64 v[4:5], v[118:119], -v[122:123]
	v_fma_f64 v[6:7], v[6:7], -0.5, v[192:193]
	v_add_f64 v[8:9], v[114:115], -v[118:119]
	v_add_f64 v[0:1], v[0:1], v[2:3]
	v_add_f64 v[2:3], v[114:115], -v[84:85]
	s_delay_alu instid0(VALU_DEP_4) | instskip(SKIP_1) | instid1(VALU_DEP_3)
	v_fma_f64 v[18:19], v[14:15], s[14:15], v[6:7]
	v_fma_f64 v[6:7], v[14:15], s[16:17], v[6:7]
	v_add_f64 v[2:3], v[2:3], v[4:5]
	v_add_f64 v[4:5], v[86:87], v[120:121]
	s_delay_alu instid0(VALU_DEP_4) | instskip(NEXT) | instid1(VALU_DEP_4)
	v_fma_f64 v[18:19], v[16:17], s[8:9], v[18:19]
	v_fma_f64 v[6:7], v[16:17], s[2:3], v[6:7]
	s_delay_alu instid0(VALU_DEP_3) | instskip(NEXT) | instid1(VALU_DEP_3)
	v_fma_f64 v[4:5], v[4:5], -0.5, v[190:191]
	v_fma_f64 v[200:201], v[2:3], s[12:13], v[18:19]
	s_delay_alu instid0(VALU_DEP_3)
	v_fma_f64 v[204:205], v[2:3], s[12:13], v[6:7]
	v_add_f64 v[6:7], v[192:193], v[84:85]
	v_add_f64 v[2:3], v[114:115], v[118:119]
	v_add_f64 v[18:19], v[84:85], -v[114:115]
	v_fma_f64 v[12:13], v[8:9], s[16:17], v[4:5]
	v_fma_f64 v[4:5], v[8:9], s[14:15], v[4:5]
	v_add_f64 v[6:7], v[6:7], v[114:115]
	v_fma_f64 v[2:3], v[2:3], -0.5, v[192:193]
	s_delay_alu instid0(VALU_DEP_4) | instskip(NEXT) | instid1(VALU_DEP_4)
	v_fma_f64 v[12:13], v[10:11], s[2:3], v[12:13]
	v_fma_f64 v[4:5], v[10:11], s[8:9], v[4:5]
	s_delay_alu instid0(VALU_DEP_4) | instskip(NEXT) | instid1(VALU_DEP_3)
	v_add_f64 v[6:7], v[6:7], v[118:119]
	v_fma_f64 v[198:199], v[0:1], s[12:13], v[12:13]
	s_delay_alu instid0(VALU_DEP_3) | instskip(SKIP_4) | instid1(VALU_DEP_4)
	v_fma_f64 v[202:203], v[0:1], s[12:13], v[4:5]
	v_add_f64 v[4:5], v[190:191], v[86:87]
	v_add_f64 v[0:1], v[112:113], v[116:117]
	v_add_f64 v[12:13], v[86:87], -v[112:113]
	v_add_f64 v[86:87], v[6:7], v[122:123]
	v_add_f64 v[4:5], v[4:5], v[112:113]
	s_delay_alu instid0(VALU_DEP_4) | instskip(NEXT) | instid1(VALU_DEP_4)
	v_fma_f64 v[0:1], v[0:1], -0.5, v[190:191]
	v_add_f64 v[12:13], v[12:13], v[20:21]
	v_lshl_add_u32 v190, v145, 4, v144
	s_delay_alu instid0(VALU_DEP_4) | instskip(NEXT) | instid1(VALU_DEP_4)
	v_add_f64 v[4:5], v[4:5], v[116:117]
	v_fma_f64 v[6:7], v[10:11], s[14:15], v[0:1]
	v_fma_f64 v[0:1], v[10:11], s[16:17], v[0:1]
	v_fma_f64 v[10:11], v[16:17], s[16:17], v[2:3]
	v_fma_f64 v[2:3], v[16:17], s[14:15], v[2:3]
	v_add_f64 v[84:85], v[4:5], v[120:121]
	v_add_f64 v[4:5], v[122:123], -v[118:119]
	v_fma_f64 v[0:1], v[8:9], s[8:9], v[0:1]
	v_fma_f64 v[6:7], v[8:9], s[2:3], v[6:7]
	;; [unrolled: 1-line block ×4, first 2 shown]
	v_add_f64 v[4:5], v[18:19], v[4:5]
	v_fma_f64 v[116:117], v[12:13], s[12:13], v[0:1]
	v_mad_u16 v0, v129, 25, v130
	v_fma_f64 v[112:113], v[12:13], s[12:13], v[6:7]
	s_delay_alu instid0(VALU_DEP_2) | instskip(NEXT) | instid1(VALU_DEP_1)
	v_and_b32_e32 v0, 0xff, v0
	v_lshl_add_u32 v193, v0, 4, v144
	v_and_b32_e32 v0, 0xffff, v124
	ds_store_b128 v193, v[131:134]
	ds_store_b128 v193, v[135:138] offset:80
	ds_store_b128 v193, v[149:152] offset:160
	;; [unrolled: 1-line block ×4, first 2 shown]
	v_mul_u32_u24_e32 v0, 25, v0
	s_delay_alu instid0(VALU_DEP_1) | instskip(NEXT) | instid1(VALU_DEP_1)
	v_add_nc_u32_e32 v0, v0, v125
	v_lshl_add_u32 v192, v0, 4, v144
	v_and_b32_e32 v0, 0xffff, v126
	ds_store_b128 v192, v[161:164]
	ds_store_b128 v192, v[165:168] offset:80
	ds_store_b128 v192, v[173:176] offset:160
	;; [unrolled: 1-line block ×4, first 2 shown]
	v_mul_u32_u24_e32 v0, 25, v0
	v_fma_f64 v[114:115], v[4:5], s[12:13], v[8:9]
	v_fma_f64 v[118:119], v[4:5], s[12:13], v[2:3]
	s_delay_alu instid0(VALU_DEP_3) | instskip(SKIP_1) | instid1(VALU_DEP_2)
	v_add_nc_u32_e32 v0, v0, v127
	v_lshlrev_b32_e32 v8, 6, v183
	v_lshl_add_u32 v191, v0, 4, v144
	ds_store_b128 v191, v[84:87]
	ds_store_b128 v191, v[112:115] offset:80
	ds_store_b128 v191, v[198:201] offset:160
	;; [unrolled: 1-line block ×4, first 2 shown]
	s_waitcnt lgkmcnt(0)
	s_barrier
	buffer_gl0_inv
	s_clause 0x1
	global_load_b128 v[84:87], v8, s[10:11] offset:320
	global_load_b128 v[136:139], v24, s[10:11] offset:320
	ds_load_b128 v[112:115], v184 offset:1200
	ds_load_b128 v[116:119], v184 offset:2400
	;; [unrolled: 1-line block ×5, first 2 shown]
	s_waitcnt vmcnt(1) lgkmcnt(4)
	v_mul_f64 v[0:1], v[114:115], v[86:87]
	s_delay_alu instid0(VALU_DEP_1) | instskip(SKIP_1) | instid1(VALU_DEP_1)
	v_fma_f64 v[120:121], v[112:113], v[84:85], -v[0:1]
	v_mul_f64 v[0:1], v[112:113], v[86:87]
	v_fma_f64 v[122:123], v[114:115], v[84:85], v[0:1]
	global_load_b128 v[112:115], v8, s[10:11] offset:336
	s_waitcnt vmcnt(0) lgkmcnt(3)
	v_mul_f64 v[0:1], v[118:119], v[114:115]
	v_mul_f64 v[2:3], v[116:117], v[114:115]
	s_delay_alu instid0(VALU_DEP_2) | instskip(NEXT) | instid1(VALU_DEP_2)
	v_fma_f64 v[0:1], v[116:117], v[112:113], -v[0:1]
	v_fma_f64 v[2:3], v[118:119], v[112:113], v[2:3]
	global_load_b128 v[116:119], v8, s[10:11] offset:352
	v_add_f64 v[194:195], v[2:3], -v[122:123]
	s_waitcnt vmcnt(0) lgkmcnt(2)
	v_mul_f64 v[4:5], v[126:127], v[118:119]
	v_mul_f64 v[6:7], v[124:125], v[118:119]
	s_delay_alu instid0(VALU_DEP_2) | instskip(NEXT) | instid1(VALU_DEP_2)
	v_fma_f64 v[4:5], v[124:125], v[116:117], -v[4:5]
	v_fma_f64 v[6:7], v[126:127], v[116:117], v[6:7]
	global_load_b128 v[124:127], v8, s[10:11] offset:368
	v_add_f64 v[175:176], v[0:1], -v[4:5]
	v_add_f64 v[171:172], v[2:3], -v[6:7]
	s_waitcnt vmcnt(0) lgkmcnt(1)
	v_mul_f64 v[8:9], v[131:132], v[126:127]
	v_mul_f64 v[10:11], v[129:130], v[126:127]
	s_delay_alu instid0(VALU_DEP_2) | instskip(NEXT) | instid1(VALU_DEP_2)
	v_fma_f64 v[8:9], v[129:130], v[124:125], -v[8:9]
	v_fma_f64 v[10:11], v[131:132], v[124:125], v[10:11]
	ds_load_b128 v[129:132], v184 offset:1600
	s_waitcnt lgkmcnt(0)
	v_mul_f64 v[12:13], v[131:132], v[86:87]
	v_mul_f64 v[14:15], v[129:130], v[86:87]
	v_add_f64 v[173:174], v[120:121], -v[8:9]
	v_add_f64 v[169:170], v[122:123], -v[10:11]
	s_delay_alu instid0(VALU_DEP_4) | instskip(NEXT) | instid1(VALU_DEP_4)
	v_fma_f64 v[12:13], v[129:130], v[84:85], -v[12:13]
	v_fma_f64 v[14:15], v[131:132], v[84:85], v[14:15]
	ds_load_b128 v[129:132], v184 offset:2800
	s_waitcnt lgkmcnt(0)
	v_mul_f64 v[16:17], v[131:132], v[114:115]
	v_mul_f64 v[18:19], v[129:130], v[114:115]
	s_delay_alu instid0(VALU_DEP_2) | instskip(NEXT) | instid1(VALU_DEP_2)
	v_fma_f64 v[16:17], v[129:130], v[112:113], -v[16:17]
	v_fma_f64 v[18:19], v[131:132], v[112:113], v[18:19]
	ds_load_b128 v[129:132], v184 offset:4000
	s_waitcnt lgkmcnt(0)
	v_mul_f64 v[20:21], v[131:132], v[118:119]
	v_mul_f64 v[22:23], v[129:130], v[118:119]
	s_delay_alu instid0(VALU_DEP_2) | instskip(NEXT) | instid1(VALU_DEP_2)
	v_fma_f64 v[20:21], v[129:130], v[116:117], -v[20:21]
	v_fma_f64 v[22:23], v[131:132], v[116:117], v[22:23]
	ds_load_b128 v[129:132], v184 offset:5200
	s_waitcnt lgkmcnt(0)
	v_mul_f64 v[133:134], v[131:132], v[126:127]
	v_add_f64 v[200:201], v[16:17], -v[20:21]
	s_delay_alu instid0(VALU_DEP_2) | instskip(SKIP_1) | instid1(VALU_DEP_2)
	v_fma_f64 v[146:147], v[129:130], v[124:125], -v[133:134]
	v_mul_f64 v[129:130], v[129:130], v[126:127]
	v_add_f64 v[198:199], v[12:13], -v[146:147]
	s_delay_alu instid0(VALU_DEP_2) | instskip(SKIP_3) | instid1(VALU_DEP_1)
	v_fma_f64 v[153:154], v[131:132], v[124:125], v[129:130]
	ds_load_b128 v[128:131], v184 offset:2000
	s_waitcnt lgkmcnt(0)
	v_mul_f64 v[132:133], v[130:131], v[138:139]
	v_fma_f64 v[177:178], v[128:129], v[136:137], -v[132:133]
	v_mul_f64 v[128:129], v[128:129], v[138:139]
	ds_load_b128 v[132:135], v184 offset:3200
	v_fma_f64 v[218:219], v[130:131], v[136:137], v[128:129]
	global_load_b128 v[128:131], v24, s[10:11] offset:336
	s_waitcnt vmcnt(0) lgkmcnt(0)
	v_mul_f64 v[140:141], v[134:135], v[130:131]
	s_delay_alu instid0(VALU_DEP_1)
	v_fma_f64 v[220:221], v[132:133], v[128:129], -v[140:141]
	v_mul_f64 v[132:133], v[132:133], v[130:131]
	ds_load_b128 v[140:143], v184 offset:4400
	v_fma_f64 v[222:223], v[134:135], v[128:129], v[132:133]
	global_load_b128 v[132:135], v24, s[10:11] offset:352
	s_waitcnt vmcnt(0) lgkmcnt(0)
	v_mul_f64 v[149:150], v[142:143], v[134:135]
	s_delay_alu instid0(VALU_DEP_1)
	v_fma_f64 v[224:225], v[140:141], v[132:133], -v[149:150]
	v_mul_f64 v[140:141], v[140:141], v[134:135]
	ds_load_b128 v[149:152], v184 offset:5600
	v_fma_f64 v[226:227], v[142:143], v[132:133], v[140:141]
	global_load_b128 v[140:143], v24, s[10:11] offset:368
	v_lshlrev_b32_e32 v24, 5, v183
	s_delay_alu instid0(VALU_DEP_1) | instskip(SKIP_2) | instid1(VALU_DEP_1)
	v_add_nc_u32_e32 v25, 0x960, v24
	s_waitcnt vmcnt(0) lgkmcnt(0)
	v_mul_f64 v[157:158], v[151:152], v[142:143]
	v_fma_f64 v[228:229], v[149:150], v[140:141], -v[157:158]
	v_mul_f64 v[149:150], v[149:150], v[142:143]
	v_add_f64 v[157:158], v[0:1], v[4:5]
	s_delay_alu instid0(VALU_DEP_2) | instskip(SKIP_2) | instid1(VALU_DEP_1)
	v_fma_f64 v[230:231], v[151:152], v[140:141], v[149:150]
	v_add_f64 v[149:150], v[120:121], -v[0:1]
	v_add_f64 v[151:152], v[8:9], -v[4:5]
	v_add_f64 v[161:162], v[149:150], v[151:152]
	v_add_f64 v[149:150], v[122:123], -v[2:3]
	v_add_f64 v[151:152], v[10:11], -v[6:7]
	s_delay_alu instid0(VALU_DEP_1) | instskip(SKIP_4) | instid1(VALU_DEP_1)
	v_add_f64 v[163:164], v[149:150], v[151:152]
	ds_load_b128 v[149:152], v184
	s_waitcnt lgkmcnt(0)
	v_fma_f64 v[165:166], v[157:158], -0.5, v[149:150]
	v_add_f64 v[157:158], v[2:3], v[6:7]
	v_fma_f64 v[167:168], v[157:158], -0.5, v[151:152]
	s_delay_alu instid0(VALU_DEP_3) | instskip(SKIP_1) | instid1(VALU_DEP_3)
	v_fma_f64 v[157:158], v[169:170], s[14:15], v[165:166]
	v_fma_f64 v[165:166], v[169:170], s[16:17], v[165:166]
	;; [unrolled: 1-line block ×4, first 2 shown]
	s_delay_alu instid0(VALU_DEP_4) | instskip(NEXT) | instid1(VALU_DEP_4)
	v_fma_f64 v[157:158], v[171:172], s[2:3], v[157:158]
	v_fma_f64 v[165:166], v[171:172], s[8:9], v[165:166]
	s_delay_alu instid0(VALU_DEP_4) | instskip(NEXT) | instid1(VALU_DEP_4)
	v_fma_f64 v[159:160], v[175:176], s[8:9], v[159:160]
	v_fma_f64 v[167:168], v[175:176], s[2:3], v[167:168]
	;; [unrolled: 3-line block ×3, first 2 shown]
	v_add_f64 v[165:166], v[120:121], v[8:9]
	v_fma_f64 v[159:160], v[163:164], s[12:13], v[159:160]
	v_fma_f64 v[163:164], v[163:164], s[12:13], v[167:168]
	v_add_f64 v[167:168], v[122:123], v[10:11]
	s_delay_alu instid0(VALU_DEP_4) | instskip(SKIP_1) | instid1(VALU_DEP_3)
	v_fma_f64 v[165:166], v[165:166], -0.5, v[149:150]
	v_add_f64 v[149:150], v[149:150], v[120:121]
	v_fma_f64 v[167:168], v[167:168], -0.5, v[151:152]
	v_add_f64 v[151:152], v[151:152], v[122:123]
	s_delay_alu instid0(VALU_DEP_3) | instskip(SKIP_1) | instid1(VALU_DEP_4)
	v_add_f64 v[122:123], v[149:150], v[0:1]
	v_add_f64 v[0:1], v[0:1], -v[120:121]
	v_fma_f64 v[149:150], v[175:176], s[16:17], v[167:168]
	s_delay_alu instid0(VALU_DEP_4) | instskip(NEXT) | instid1(VALU_DEP_4)
	v_add_f64 v[2:3], v[151:152], v[2:3]
	v_add_f64 v[120:121], v[122:123], v[4:5]
	v_add_f64 v[4:5], v[4:5], -v[8:9]
	s_delay_alu instid0(VALU_DEP_3) | instskip(NEXT) | instid1(VALU_DEP_3)
	v_add_f64 v[2:3], v[2:3], v[6:7]
	v_add_f64 v[120:121], v[120:121], v[8:9]
	v_fma_f64 v[8:9], v[171:172], s[14:15], v[165:166]
	s_delay_alu instid0(VALU_DEP_4) | instskip(NEXT) | instid1(VALU_DEP_4)
	v_add_f64 v[0:1], v[0:1], v[4:5]
	v_add_f64 v[122:123], v[2:3], v[10:11]
	v_add_f64 v[2:3], v[6:7], -v[10:11]
	v_fma_f64 v[6:7], v[171:172], s[16:17], v[165:166]
	v_fma_f64 v[10:11], v[175:176], s[14:15], v[167:168]
	s_delay_alu instid0(VALU_DEP_3) | instskip(NEXT) | instid1(VALU_DEP_3)
	v_add_f64 v[2:3], v[194:195], v[2:3]
	v_fma_f64 v[4:5], v[169:170], s[2:3], v[6:7]
	v_fma_f64 v[6:7], v[169:170], s[8:9], v[8:9]
	s_delay_alu instid0(VALU_DEP_4)
	v_fma_f64 v[8:9], v[173:174], s[8:9], v[10:11]
	v_fma_f64 v[10:11], v[173:174], s[2:3], v[149:150]
	ds_load_b128 v[169:172], v184 offset:400
	s_waitcnt lgkmcnt(0)
	s_barrier
	buffer_gl0_inv
	v_fma_f64 v[149:150], v[0:1], s[12:13], v[4:5]
	v_fma_f64 v[165:166], v[0:1], s[12:13], v[6:7]
	;; [unrolled: 1-line block ×4, first 2 shown]
	v_add_f64 v[0:1], v[12:13], -v[16:17]
	v_add_f64 v[2:3], v[146:147], -v[20:21]
	;; [unrolled: 1-line block ×3, first 2 shown]
	v_add_f64 v[6:7], v[18:19], v[22:23]
	v_add_f64 v[8:9], v[14:15], -v[153:154]
	v_add_f64 v[10:11], v[18:19], -v[22:23]
	v_add_f64 v[0:1], v[0:1], v[2:3]
	v_add_f64 v[2:3], v[14:15], -v[18:19]
	v_fma_f64 v[6:7], v[6:7], -0.5, v[171:172]
	s_delay_alu instid0(VALU_DEP_2) | instskip(SKIP_1) | instid1(VALU_DEP_3)
	v_add_f64 v[2:3], v[2:3], v[4:5]
	v_add_f64 v[4:5], v[16:17], v[20:21]
	v_fma_f64 v[175:176], v[198:199], s[16:17], v[6:7]
	v_fma_f64 v[6:7], v[198:199], s[14:15], v[6:7]
	s_delay_alu instid0(VALU_DEP_3) | instskip(NEXT) | instid1(VALU_DEP_3)
	v_fma_f64 v[4:5], v[4:5], -0.5, v[169:170]
	v_fma_f64 v[175:176], v[200:201], s[8:9], v[175:176]
	s_delay_alu instid0(VALU_DEP_3) | instskip(NEXT) | instid1(VALU_DEP_3)
	v_fma_f64 v[6:7], v[200:201], s[2:3], v[6:7]
	v_fma_f64 v[173:174], v[8:9], s[14:15], v[4:5]
	;; [unrolled: 1-line block ×3, first 2 shown]
	s_delay_alu instid0(VALU_DEP_3)
	v_fma_f64 v[196:197], v[2:3], s[12:13], v[6:7]
	v_add_f64 v[6:7], v[171:172], v[14:15]
	v_fma_f64 v[175:176], v[2:3], s[12:13], v[175:176]
	v_add_f64 v[2:3], v[14:15], v[153:154]
	v_add_f64 v[14:15], v[18:19], -v[14:15]
	v_fma_f64 v[173:174], v[10:11], s[2:3], v[173:174]
	v_fma_f64 v[4:5], v[10:11], s[8:9], v[4:5]
	v_add_f64 v[6:7], v[6:7], v[18:19]
	v_fma_f64 v[2:3], v[2:3], -0.5, v[171:172]
	s_delay_alu instid0(VALU_DEP_4) | instskip(NEXT) | instid1(VALU_DEP_4)
	v_fma_f64 v[173:174], v[0:1], s[12:13], v[173:174]
	v_fma_f64 v[194:195], v[0:1], s[12:13], v[4:5]
	v_add_f64 v[4:5], v[169:170], v[12:13]
	v_add_f64 v[0:1], v[12:13], v[146:147]
	;; [unrolled: 1-line block ×3, first 2 shown]
	v_add_f64 v[12:13], v[16:17], -v[12:13]
	s_delay_alu instid0(VALU_DEP_4) | instskip(NEXT) | instid1(VALU_DEP_4)
	v_add_f64 v[4:5], v[4:5], v[16:17]
	v_fma_f64 v[0:1], v[0:1], -0.5, v[169:170]
	v_add_f64 v[16:17], v[20:21], -v[146:147]
	v_add_f64 v[171:172], v[6:7], v[153:154]
	s_delay_alu instid0(VALU_DEP_4) | instskip(NEXT) | instid1(VALU_DEP_4)
	v_add_f64 v[4:5], v[4:5], v[20:21]
	v_fma_f64 v[6:7], v[10:11], s[16:17], v[0:1]
	v_fma_f64 v[0:1], v[10:11], s[14:15], v[0:1]
	;; [unrolled: 1-line block ×4, first 2 shown]
	v_add_f64 v[12:13], v[12:13], v[16:17]
	v_add_f64 v[16:17], v[177:178], -v[228:229]
	v_add_f64 v[20:21], v[228:229], -v[224:225]
	v_add_f64 v[169:170], v[4:5], v[146:147]
	v_add_f64 v[4:5], v[22:23], -v[153:154]
	v_fma_f64 v[0:1], v[8:9], s[8:9], v[0:1]
	v_fma_f64 v[6:7], v[8:9], s[2:3], v[6:7]
	;; [unrolled: 1-line block ×4, first 2 shown]
	v_add_f64 v[10:11], v[218:219], -v[230:231]
	v_add_f64 v[4:5], v[14:15], v[4:5]
	v_fma_f64 v[202:203], v[12:13], s[12:13], v[0:1]
	v_add_f64 v[0:1], v[220:221], -v[177:178]
	v_fma_f64 v[198:199], v[12:13], s[12:13], v[6:7]
	v_add_f64 v[6:7], v[218:219], v[230:231]
	v_add_f64 v[14:15], v[220:221], -v[224:225]
	v_fma_f64 v[204:205], v[4:5], s[12:13], v[2:3]
	v_add_f64 v[2:3], v[224:225], -v[228:229]
	v_fma_f64 v[200:201], v[4:5], s[12:13], v[8:9]
	v_add_f64 v[4:5], v[226:227], -v[230:231]
	v_fma_f64 v[6:7], v[6:7], -0.5, v[208:209]
	v_add_f64 v[8:9], v[222:223], -v[226:227]
	ds_store_b128 v184, v[120:123]
	ds_store_b128 v184, v[169:172] offset:2000
	ds_store_b128 v184, v[157:160] offset:400
	;; [unrolled: 1-line block ×9, first 2 shown]
	v_add_f64 v[0:1], v[0:1], v[2:3]
	v_add_f64 v[2:3], v[222:223], -v[218:219]
	v_fma_f64 v[18:19], v[14:15], s[14:15], v[6:7]
	v_fma_f64 v[6:7], v[14:15], s[16:17], v[6:7]
	s_delay_alu instid0(VALU_DEP_3) | instskip(SKIP_1) | instid1(VALU_DEP_4)
	v_add_f64 v[2:3], v[2:3], v[4:5]
	v_add_f64 v[4:5], v[177:178], v[228:229]
	v_fma_f64 v[18:19], v[16:17], s[8:9], v[18:19]
	s_delay_alu instid0(VALU_DEP_4) | instskip(NEXT) | instid1(VALU_DEP_3)
	v_fma_f64 v[6:7], v[16:17], s[2:3], v[6:7]
	v_fma_f64 v[4:5], v[4:5], -0.5, v[206:207]
	s_delay_alu instid0(VALU_DEP_3) | instskip(NEXT) | instid1(VALU_DEP_3)
	v_fma_f64 v[212:213], v[2:3], s[12:13], v[18:19]
	v_fma_f64 v[216:217], v[2:3], s[12:13], v[6:7]
	v_add_f64 v[6:7], v[208:209], v[218:219]
	v_add_f64 v[2:3], v[222:223], v[226:227]
	v_add_f64 v[18:19], v[218:219], -v[222:223]
	v_fma_f64 v[12:13], v[8:9], s[16:17], v[4:5]
	v_fma_f64 v[4:5], v[8:9], s[14:15], v[4:5]
	v_add_f64 v[6:7], v[6:7], v[222:223]
	v_fma_f64 v[2:3], v[2:3], -0.5, v[208:209]
	s_delay_alu instid0(VALU_DEP_4) | instskip(NEXT) | instid1(VALU_DEP_4)
	v_fma_f64 v[12:13], v[10:11], s[2:3], v[12:13]
	v_fma_f64 v[4:5], v[10:11], s[8:9], v[4:5]
	s_delay_alu instid0(VALU_DEP_4) | instskip(NEXT) | instid1(VALU_DEP_3)
	v_add_f64 v[6:7], v[6:7], v[226:227]
	v_fma_f64 v[210:211], v[0:1], s[12:13], v[12:13]
	s_delay_alu instid0(VALU_DEP_3) | instskip(SKIP_4) | instid1(VALU_DEP_4)
	v_fma_f64 v[214:215], v[0:1], s[12:13], v[4:5]
	v_add_f64 v[4:5], v[206:207], v[177:178]
	v_add_f64 v[0:1], v[220:221], v[224:225]
	v_add_f64 v[12:13], v[177:178], -v[220:221]
	v_add_f64 v[208:209], v[6:7], v[230:231]
	v_add_f64 v[4:5], v[4:5], v[220:221]
	s_delay_alu instid0(VALU_DEP_4) | instskip(NEXT) | instid1(VALU_DEP_4)
	v_fma_f64 v[0:1], v[0:1], -0.5, v[206:207]
	v_add_f64 v[12:13], v[12:13], v[20:21]
	v_lshlrev_b32_e32 v20, 5, v156
	s_delay_alu instid0(VALU_DEP_4) | instskip(NEXT) | instid1(VALU_DEP_4)
	v_add_f64 v[4:5], v[4:5], v[224:225]
	v_fma_f64 v[6:7], v[10:11], s[14:15], v[0:1]
	v_fma_f64 v[0:1], v[10:11], s[16:17], v[0:1]
	;; [unrolled: 1-line block ×4, first 2 shown]
	v_add_f64 v[206:207], v[4:5], v[228:229]
	v_add_f64 v[4:5], v[230:231], -v[226:227]
	v_fma_f64 v[6:7], v[8:9], s[2:3], v[6:7]
	v_fma_f64 v[0:1], v[8:9], s[8:9], v[0:1]
	;; [unrolled: 1-line block ×4, first 2 shown]
	v_add_f64 v[4:5], v[18:19], v[4:5]
	v_fma_f64 v[218:219], v[12:13], s[12:13], v[6:7]
	v_fma_f64 v[222:223], v[12:13], s[12:13], v[0:1]
	v_lshlrev_b32_e32 v12, 5, v148
	s_delay_alu instid0(VALU_DEP_4)
	v_fma_f64 v[220:221], v[4:5], s[12:13], v[8:9]
	v_fma_f64 v[224:225], v[4:5], s[12:13], v[2:3]
	ds_store_b128 v190, v[206:209] offset:4000
	ds_store_b128 v190, v[218:221] offset:4400
	;; [unrolled: 1-line block ×5, first 2 shown]
	s_waitcnt lgkmcnt(0)
	s_barrier
	buffer_gl0_inv
	global_load_b128 v[120:123], v24, s[10:11] offset:1920
	ds_load_b128 v[144:147], v184 offset:2000
	ds_load_b128 v[242:245], v184 offset:1600
	;; [unrolled: 1-line block ×9, first 2 shown]
	s_waitcnt vmcnt(0) lgkmcnt(8)
	v_mul_f64 v[0:1], v[146:147], v[122:123]
	v_mul_f64 v[2:3], v[144:145], v[122:123]
	s_delay_alu instid0(VALU_DEP_2) | instskip(NEXT) | instid1(VALU_DEP_2)
	v_fma_f64 v[0:1], v[144:145], v[120:121], -v[0:1]
	v_fma_f64 v[2:3], v[146:147], v[120:121], v[2:3]
	global_load_b128 v[144:147], v24, s[10:11] offset:1936
	v_add_nc_u32_e32 v24, 0xc80, v24
	s_waitcnt vmcnt(0) lgkmcnt(6)
	v_mul_f64 v[4:5], v[151:152], v[146:147]
	v_mul_f64 v[6:7], v[149:150], v[146:147]
	s_delay_alu instid0(VALU_DEP_2) | instskip(NEXT) | instid1(VALU_DEP_2)
	v_fma_f64 v[4:5], v[149:150], v[144:145], -v[4:5]
	v_fma_f64 v[6:7], v[151:152], v[144:145], v[6:7]
	global_load_b128 v[148:151], v12, s[10:11] offset:1920
	ds_load_b128 v[152:155], v184 offset:2400
	s_waitcnt vmcnt(0) lgkmcnt(0)
	v_mul_f64 v[8:9], v[154:155], v[150:151]
	v_mul_f64 v[10:11], v[152:153], v[150:151]
	s_delay_alu instid0(VALU_DEP_2) | instskip(NEXT) | instid1(VALU_DEP_2)
	v_fma_f64 v[8:9], v[152:153], v[148:149], -v[8:9]
	v_fma_f64 v[10:11], v[154:155], v[148:149], v[10:11]
	global_load_b128 v[152:155], v12, s[10:11] offset:1936
	s_waitcnt vmcnt(0)
	v_mul_f64 v[12:13], v[159:160], v[154:155]
	v_mul_f64 v[14:15], v[157:158], v[154:155]
	s_delay_alu instid0(VALU_DEP_2) | instskip(NEXT) | instid1(VALU_DEP_2)
	v_fma_f64 v[12:13], v[157:158], v[152:153], -v[12:13]
	v_fma_f64 v[14:15], v[159:160], v[152:153], v[14:15]
	global_load_b128 v[156:159], v20, s[10:11] offset:1920
	ds_load_b128 v[160:163], v184 offset:2800
	s_waitcnt vmcnt(0) lgkmcnt(0)
	v_mul_f64 v[16:17], v[162:163], v[158:159]
	v_mul_f64 v[18:19], v[160:161], v[158:159]
	s_delay_alu instid0(VALU_DEP_2) | instskip(NEXT) | instid1(VALU_DEP_2)
	v_fma_f64 v[16:17], v[160:161], v[156:157], -v[16:17]
	v_fma_f64 v[18:19], v[162:163], v[156:157], v[18:19]
	global_load_b128 v[160:163], v20, s[10:11] offset:1936
	s_waitcnt vmcnt(0)
	v_mul_f64 v[20:21], v[166:167], v[162:163]
	v_mul_f64 v[22:23], v[164:165], v[162:163]
	s_delay_alu instid0(VALU_DEP_2) | instskip(NEXT) | instid1(VALU_DEP_2)
	v_fma_f64 v[20:21], v[164:165], v[160:161], -v[20:21]
	v_fma_f64 v[22:23], v[166:167], v[160:161], v[22:23]
	global_load_b128 v[164:167], v25, s[10:11] offset:1920
	s_waitcnt vmcnt(0)
	v_mul_f64 v[172:173], v[170:171], v[166:167]
	s_delay_alu instid0(VALU_DEP_1)
	v_fma_f64 v[234:235], v[168:169], v[164:165], -v[172:173]
	v_mul_f64 v[168:169], v[168:169], v[166:167]
	ds_load_b128 v[172:175], v184 offset:5200
	v_fma_f64 v[236:237], v[170:171], v[164:165], v[168:169]
	global_load_b128 v[168:171], v25, s[10:11] offset:1936
	s_waitcnt vmcnt(0) lgkmcnt(0)
	v_mul_f64 v[176:177], v[174:175], v[170:171]
	s_delay_alu instid0(VALU_DEP_1)
	v_fma_f64 v[238:239], v[172:173], v[168:169], -v[176:177]
	v_mul_f64 v[172:173], v[172:173], v[170:171]
	ds_load_b128 v[176:179], v184 offset:3600
	v_fma_f64 v[240:241], v[174:175], v[168:169], v[172:173]
	global_load_b128 v[172:175], v24, s[10:11] offset:1920
	s_waitcnt vmcnt(0) lgkmcnt(0)
	v_mul_f64 v[194:195], v[178:179], v[174:175]
	s_delay_alu instid0(VALU_DEP_1)
	v_fma_f64 v[246:247], v[176:177], v[172:173], -v[194:195]
	v_mul_f64 v[176:177], v[176:177], v[174:175]
	ds_load_b128 v[194:197], v184 offset:5600
	v_fma_f64 v[248:249], v[178:179], v[172:173], v[176:177]
	global_load_b128 v[176:179], v24, s[10:11] offset:1936
	s_mov_b32 s10, 0xe8584caa
	s_mov_b32 s11, 0x3febb67a
	;; [unrolled: 1-line block ×3, first 2 shown]
	s_waitcnt vmcnt(0) lgkmcnt(0)
	v_mul_f64 v[198:199], v[196:197], v[178:179]
	s_delay_alu instid0(VALU_DEP_1) | instskip(SKIP_2) | instid1(VALU_DEP_2)
	v_fma_f64 v[250:251], v[194:195], v[176:177], -v[198:199]
	v_mul_f64 v[194:195], v[194:195], v[178:179]
	v_add_f64 v[198:199], v[0:1], v[4:5]
	v_fma_f64 v[252:253], v[196:197], v[176:177], v[194:195]
	ds_load_b128 v[194:197], v184
	s_waitcnt lgkmcnt(0)
	v_fma_f64 v[200:201], v[198:199], -0.5, v[194:195]
	v_add_f64 v[198:199], v[2:3], v[6:7]
	v_add_f64 v[194:195], v[194:195], v[0:1]
	v_add_f64 v[0:1], v[0:1], -v[4:5]
	s_delay_alu instid0(VALU_DEP_3) | instskip(SKIP_4) | instid1(VALU_DEP_4)
	v_fma_f64 v[204:205], v[198:199], -0.5, v[196:197]
	v_add_f64 v[196:197], v[196:197], v[2:3]
	v_add_f64 v[2:3], v[2:3], -v[6:7]
	v_add_f64 v[194:195], v[194:195], v[4:5]
	v_add_f64 v[4:5], v[208:209], v[10:11]
	;; [unrolled: 1-line block ×3, first 2 shown]
	s_delay_alu instid0(VALU_DEP_4)
	v_fma_f64 v[198:199], v[2:3], s[10:11], v[200:201]
	v_fma_f64 v[202:203], v[2:3], s[18:19], v[200:201]
	;; [unrolled: 1-line block ×4, first 2 shown]
	v_add_f64 v[0:1], v[8:9], v[12:13]
	v_add_f64 v[2:3], v[10:11], v[14:15]
	v_add_f64 v[10:11], v[10:11], -v[14:15]
	v_add_f64 v[6:7], v[206:207], v[8:9]
	s_delay_alu instid0(VALU_DEP_4) | instskip(NEXT) | instid1(VALU_DEP_4)
	v_fma_f64 v[0:1], v[0:1], -0.5, v[206:207]
	v_fma_f64 v[2:3], v[2:3], -0.5, v[208:209]
	v_add_f64 v[208:209], v[4:5], v[14:15]
	v_add_f64 v[4:5], v[8:9], -v[12:13]
	v_add_f64 v[8:9], v[18:19], -v[22:23]
	v_add_f64 v[206:207], v[6:7], v[12:13]
	v_add_f64 v[6:7], v[218:219], v[16:17]
	v_fma_f64 v[210:211], v[10:11], s[10:11], v[0:1]
	v_fma_f64 v[214:215], v[10:11], s[18:19], v[0:1]
	v_add_f64 v[0:1], v[16:17], v[20:21]
	v_fma_f64 v[212:213], v[4:5], s[18:19], v[2:3]
	v_fma_f64 v[216:217], v[4:5], s[10:11], v[2:3]
	v_add_f64 v[2:3], v[18:19], v[22:23]
	v_add_f64 v[4:5], v[220:221], v[18:19]
	v_fma_f64 v[0:1], v[0:1], -0.5, v[218:219]
	v_add_f64 v[218:219], v[6:7], v[20:21]
	v_add_f64 v[6:7], v[230:231], v[234:235]
	v_fma_f64 v[2:3], v[2:3], -0.5, v[220:221]
	v_add_f64 v[220:221], v[4:5], v[22:23]
	v_add_f64 v[4:5], v[16:17], -v[20:21]
	v_fma_f64 v[222:223], v[8:9], s[10:11], v[0:1]
	v_fma_f64 v[226:227], v[8:9], s[18:19], v[0:1]
	v_add_f64 v[0:1], v[234:235], v[238:239]
	v_add_f64 v[8:9], v[236:237], -v[240:241]
	v_fma_f64 v[224:225], v[4:5], s[18:19], v[2:3]
	v_fma_f64 v[228:229], v[4:5], s[10:11], v[2:3]
	v_add_f64 v[2:3], v[236:237], v[240:241]
	v_add_f64 v[4:5], v[232:233], v[236:237]
	v_fma_f64 v[0:1], v[0:1], -0.5, v[230:231]
	v_add_f64 v[230:231], v[6:7], v[238:239]
	v_add_f64 v[6:7], v[242:243], v[246:247]
	v_fma_f64 v[2:3], v[2:3], -0.5, v[232:233]
	v_add_f64 v[232:233], v[4:5], v[240:241]
	v_add_f64 v[4:5], v[234:235], -v[238:239]
	v_fma_f64 v[234:235], v[8:9], s[10:11], v[0:1]
	v_fma_f64 v[238:239], v[8:9], s[18:19], v[0:1]
	v_add_f64 v[0:1], v[246:247], v[250:251]
	v_add_f64 v[8:9], v[248:249], -v[252:253]
	v_fma_f64 v[236:237], v[4:5], s[18:19], v[2:3]
	v_fma_f64 v[240:241], v[4:5], s[10:11], v[2:3]
	v_add_f64 v[2:3], v[248:249], v[252:253]
	v_add_f64 v[4:5], v[244:245], v[248:249]
	v_fma_f64 v[0:1], v[0:1], -0.5, v[242:243]
	v_add_f64 v[242:243], v[6:7], v[250:251]
	s_delay_alu instid0(VALU_DEP_4) | instskip(NEXT) | instid1(VALU_DEP_4)
	v_fma_f64 v[2:3], v[2:3], -0.5, v[244:245]
	v_add_f64 v[244:245], v[4:5], v[252:253]
	v_add_f64 v[4:5], v[246:247], -v[250:251]
	v_fma_f64 v[246:247], v[8:9], s[10:11], v[0:1]
	v_fma_f64 v[250:251], v[8:9], s[18:19], v[0:1]
	v_add_co_u32 v8, vcc_lo, 0x1770, v185
	v_add_co_ci_u32_e32 v9, vcc_lo, 0, v186, vcc_lo
	v_fma_f64 v[248:249], v[4:5], s[18:19], v[2:3]
	v_fma_f64 v[252:253], v[4:5], s[10:11], v[2:3]
	ds_store_b128 v184, v[194:197]
	ds_store_b128 v184, v[206:209] offset:400
	ds_store_b128 v184, v[218:221] offset:800
	;; [unrolled: 1-line block ×14, first 2 shown]
	s_waitcnt lgkmcnt(0)
	s_barrier
	buffer_gl0_inv
	global_load_b128 v[194:197], v[181:182], off offset:1904
	ds_load_b128 v[198:201], v184
	ds_load_b128 v[228:231], v184 offset:400
	ds_load_b128 v[204:207], v184 offset:1200
	ds_load_b128 v[234:237], v184 offset:1600
	ds_load_b128 v[210:213], v184 offset:2400
	ds_load_b128 v[240:243], v184 offset:2800
	ds_load_b128 v[216:219], v184 offset:3600
	ds_load_b128 v[246:249], v184 offset:4000
	v_add_co_u32 v181, vcc_lo, 0x2000, v185
	v_add_co_ci_u32_e32 v182, vcc_lo, 0, v186, vcc_lo
	ds_load_b128 v[222:225], v184 offset:4800
	ds_load_b128 v[252:255], v184 offset:5200
	global_load_b128 v[4:7], v[8:9], off offset:800
	s_waitcnt vmcnt(1) lgkmcnt(9)
	v_mul_f64 v[0:1], v[200:201], v[196:197]
	v_mul_f64 v[2:3], v[198:199], v[196:197]
	s_delay_alu instid0(VALU_DEP_2) | instskip(NEXT) | instid1(VALU_DEP_2)
	v_fma_f64 v[196:197], v[198:199], v[194:195], -v[0:1]
	v_fma_f64 v[198:199], v[200:201], v[194:195], v[2:3]
	global_load_b128 v[200:203], v[8:9], off offset:1200
	s_waitcnt vmcnt(0) lgkmcnt(7)
	v_mul_f64 v[0:1], v[206:207], v[202:203]
	v_mul_f64 v[2:3], v[204:205], v[202:203]
	s_delay_alu instid0(VALU_DEP_2) | instskip(NEXT) | instid1(VALU_DEP_2)
	v_fma_f64 v[202:203], v[204:205], v[200:201], -v[0:1]
	v_fma_f64 v[204:205], v[206:207], v[200:201], v[2:3]
	;; [unrolled: 7-line block ×5, first 2 shown]
	global_load_b128 v[224:227], v[8:9], off offset:400
	s_waitcnt vmcnt(0)
	v_mul_f64 v[0:1], v[230:231], v[226:227]
	v_mul_f64 v[2:3], v[228:229], v[226:227]
	s_delay_alu instid0(VALU_DEP_2) | instskip(NEXT) | instid1(VALU_DEP_2)
	v_fma_f64 v[226:227], v[228:229], v[224:225], -v[0:1]
	v_fma_f64 v[228:229], v[230:231], v[224:225], v[2:3]
	global_load_b128 v[230:233], v[8:9], off offset:1600
	s_waitcnt vmcnt(0)
	v_mul_f64 v[0:1], v[236:237], v[232:233]
	v_mul_f64 v[2:3], v[234:235], v[232:233]
	s_delay_alu instid0(VALU_DEP_2) | instskip(NEXT) | instid1(VALU_DEP_2)
	v_fma_f64 v[232:233], v[234:235], v[230:231], -v[0:1]
	v_fma_f64 v[234:235], v[236:237], v[230:231], v[2:3]
	;; [unrolled: 7-line block ×4, first 2 shown]
	global_load_b128 v[248:251], v[181:182], off offset:3008
	s_waitcnt vmcnt(0) lgkmcnt(0)
	v_mul_f64 v[0:1], v[254:255], v[250:251]
	v_mul_f64 v[2:3], v[252:253], v[250:251]
	s_delay_alu instid0(VALU_DEP_2) | instskip(NEXT) | instid1(VALU_DEP_2)
	v_fma_f64 v[250:251], v[252:253], v[248:249], -v[0:1]
	v_fma_f64 v[252:253], v[254:255], v[248:249], v[2:3]
	ds_load_b128 v[0:3], v184 offset:800
	s_waitcnt lgkmcnt(0)
	v_mul_f64 v[10:11], v[2:3], v[6:7]
	v_mul_f64 v[6:7], v[0:1], v[6:7]
	s_delay_alu instid0(VALU_DEP_2) | instskip(NEXT) | instid1(VALU_DEP_2)
	v_fma_f64 v[20:21], v[0:1], v[4:5], -v[10:11]
	v_fma_f64 v[22:23], v[2:3], v[4:5], v[6:7]
	global_load_b128 v[4:7], v[8:9], off offset:2000
	ds_load_b128 v[0:3], v184 offset:2000
	s_waitcnt vmcnt(0) lgkmcnt(0)
	v_mul_f64 v[10:11], v[2:3], v[6:7]
	v_mul_f64 v[6:7], v[0:1], v[6:7]
	s_delay_alu instid0(VALU_DEP_2) | instskip(NEXT) | instid1(VALU_DEP_2)
	v_fma_f64 v[16:17], v[0:1], v[4:5], -v[10:11]
	v_fma_f64 v[18:19], v[2:3], v[4:5], v[6:7]
	global_load_b128 v[4:7], v[8:9], off offset:3200
	ds_load_b128 v[0:3], v184 offset:3200
	s_waitcnt vmcnt(0) lgkmcnt(0)
	;; [unrolled: 8-line block ×4, first 2 shown]
	v_mul_f64 v[181:182], v[2:3], v[6:7]
	v_mul_f64 v[6:7], v[0:1], v[6:7]
	s_delay_alu instid0(VALU_DEP_2) | instskip(NEXT) | instid1(VALU_DEP_2)
	v_fma_f64 v[0:1], v[0:1], v[4:5], -v[181:182]
	v_fma_f64 v[2:3], v[2:3], v[4:5], v[6:7]
	ds_store_b128 v184, v[196:199]
	ds_store_b128 v184, v[226:229] offset:400
	ds_store_b128 v184, v[208:211] offset:2400
	;; [unrolled: 1-line block ×14, first 2 shown]
	s_waitcnt lgkmcnt(0)
	s_barrier
	buffer_gl0_inv
	ds_load_b128 v[0:3], v184 offset:1200
	ds_load_b128 v[4:7], v184
	ds_load_b128 v[8:11], v184 offset:2400
	s_waitcnt lgkmcnt(1)
	v_add_f64 v[12:13], v[4:5], v[0:1]
	s_waitcnt lgkmcnt(0)
	v_add_f64 v[202:203], v[0:1], -v[8:9]
	v_add_f64 v[204:205], v[8:9], -v[0:1]
	;; [unrolled: 1-line block ×4, first 2 shown]
	v_add_f64 v[16:17], v[12:13], v[8:9]
	v_add_f64 v[12:13], v[6:7], v[2:3]
	s_delay_alu instid0(VALU_DEP_1)
	v_add_f64 v[18:19], v[12:13], v[10:11]
	ds_load_b128 v[12:15], v184 offset:3600
	s_waitcnt lgkmcnt(0)
	v_add_f64 v[181:182], v[8:9], v[12:13]
	v_add_f64 v[185:186], v[10:11], -v[14:15]
	v_add_f64 v[206:207], v[10:11], v[14:15]
	v_add_f64 v[208:209], v[8:9], -v[12:13]
	ds_load_b128 v[8:11], v184 offset:4800
	s_waitcnt lgkmcnt(0)
	v_add_f64 v[214:215], v[2:3], -v[10:11]
	v_add_f64 v[216:217], v[0:1], v[8:9]
	v_add_f64 v[218:219], v[0:1], -v[8:9]
	v_add_f64 v[220:221], v[2:3], v[10:11]
	v_add_f64 v[0:1], v[16:17], v[12:13]
	;; [unrolled: 1-line block ×3, first 2 shown]
	v_add_f64 v[222:223], v[8:9], -v[12:13]
	v_add_f64 v[224:225], v[12:13], -v[8:9]
	;; [unrolled: 1-line block ×4, first 2 shown]
	v_fma_f64 v[181:182], v[181:182], -0.5, v[4:5]
	v_add_f64 v[236:237], v[0:1], v[8:9]
	v_add_f64 v[238:239], v[2:3], v[10:11]
	ds_load_b128 v[8:11], v184 offset:400
	ds_load_b128 v[12:15], v184 offset:1600
	;; [unrolled: 1-line block ×3, first 2 shown]
	v_add_f64 v[202:203], v[202:203], v[222:223]
	s_waitcnt lgkmcnt(1)
	v_add_f64 v[20:21], v[8:9], v[12:13]
	s_waitcnt lgkmcnt(0)
	v_add_f64 v[234:235], v[12:13], -v[16:17]
	v_add_f64 v[60:61], v[16:17], -v[12:13]
	;; [unrolled: 1-line block ×4, first 2 shown]
	v_add_f64 v[194:195], v[20:21], v[16:17]
	v_add_f64 v[20:21], v[10:11], v[14:15]
	s_delay_alu instid0(VALU_DEP_1)
	v_add_f64 v[196:197], v[20:21], v[18:19]
	ds_load_b128 v[20:23], v184 offset:4000
	s_waitcnt lgkmcnt(0)
	v_add_f64 v[230:231], v[16:17], v[20:21]
	v_add_f64 v[232:233], v[18:19], -v[22:23]
	v_add_f64 v[56:57], v[18:19], v[22:23]
	v_add_f64 v[240:241], v[16:17], -v[20:21]
	ds_load_b128 v[16:19], v184 offset:5200
	s_waitcnt lgkmcnt(0)
	v_add_f64 v[246:247], v[14:15], -v[18:19]
	v_add_f64 v[248:249], v[12:13], v[16:17]
	v_add_f64 v[250:251], v[12:13], -v[16:17]
	v_add_f64 v[252:253], v[14:15], v[18:19]
	v_add_f64 v[12:13], v[194:195], v[20:21]
	;; [unrolled: 1-line block ×3, first 2 shown]
	v_add_f64 v[254:255], v[16:17], -v[20:21]
	v_add_f64 v[44:45], v[20:21], -v[16:17]
	;; [unrolled: 1-line block ×4, first 2 shown]
	v_fma_f64 v[56:57], v[56:57], -0.5, v[10:11]
	v_add_f64 v[24:25], v[12:13], v[16:17]
	v_add_f64 v[26:27], v[14:15], v[18:19]
	ds_load_b128 v[16:19], v184 offset:800
	ds_load_b128 v[20:23], v184 offset:2000
	;; [unrolled: 1-line block ×3, first 2 shown]
	v_add_f64 v[52:53], v[242:243], v[52:53]
	s_waitcnt lgkmcnt(1)
	v_add_f64 v[198:199], v[18:19], v[22:23]
	v_add_f64 v[30:31], v[16:17], v[20:21]
	s_waitcnt lgkmcnt(0)
	v_add_f64 v[48:49], v[20:21], -v[194:195]
	v_add_f64 v[40:41], v[194:195], -v[20:21]
	;; [unrolled: 1-line block ×4, first 2 shown]
	v_add_f64 v[0:1], v[198:199], v[196:197]
	ds_load_b128 v[198:201], v184 offset:4400
	v_add_f64 v[30:31], v[30:31], v[194:195]
	s_waitcnt lgkmcnt(0)
	v_add_f64 v[38:39], v[194:195], v[198:199]
	v_add_f64 v[14:15], v[196:197], -v[200:201]
	v_add_f64 v[42:43], v[196:197], v[200:201]
	v_add_f64 v[12:13], v[194:195], -v[198:199]
	ds_load_b128 v[194:197], v184 offset:5600
	s_waitcnt lgkmcnt(0)
	s_barrier
	buffer_gl0_inv
	v_add_f64 v[0:1], v[0:1], v[200:201]
	v_add_f64 v[28:29], v[20:21], v[194:195]
	v_add_f64 v[54:55], v[20:21], -v[194:195]
	v_add_f64 v[20:21], v[30:31], v[198:199]
	v_add_f64 v[50:51], v[22:23], -v[196:197]
	;; [unrolled: 2-line block ×3, first 2 shown]
	v_add_f64 v[58:59], v[198:199], -v[194:195]
	v_fma_f64 v[198:199], v[206:207], -0.5, v[6:7]
	v_add_f64 v[30:31], v[196:197], -v[200:201]
	v_add_f64 v[62:63], v[200:201], -v[196:197]
	v_add_f64 v[200:201], v[212:213], v[228:229]
	v_add_f64 v[22:23], v[0:1], v[196:197]
	v_fma_f64 v[0:1], v[216:217], -0.5, v[4:5]
	v_add_f64 v[196:197], v[204:205], v[224:225]
	v_add_f64 v[20:21], v[20:21], v[194:195]
	v_fma_f64 v[194:195], v[220:221], -0.5, v[6:7]
	s_delay_alu instid0(VALU_DEP_4) | instskip(SKIP_1) | instid1(VALU_DEP_3)
	v_fma_f64 v[4:5], v[185:186], s[14:15], v[0:1]
	v_fma_f64 v[0:1], v[185:186], s[16:17], v[0:1]
	;; [unrolled: 1-line block ×4, first 2 shown]
	s_delay_alu instid0(VALU_DEP_4) | instskip(NEXT) | instid1(VALU_DEP_4)
	v_fma_f64 v[4:5], v[214:215], s[8:9], v[4:5]
	v_fma_f64 v[0:1], v[214:215], s[2:3], v[0:1]
	s_delay_alu instid0(VALU_DEP_4) | instskip(NEXT) | instid1(VALU_DEP_4)
	v_fma_f64 v[6:7], v[218:219], s[2:3], v[6:7]
	v_fma_f64 v[204:205], v[218:219], s[8:9], v[194:195]
	;; [unrolled: 3-line block ×3, first 2 shown]
	v_fma_f64 v[0:1], v[214:215], s[16:17], v[181:182]
	v_fma_f64 v[181:182], v[214:215], s[14:15], v[181:182]
	;; [unrolled: 1-line block ×6, first 2 shown]
	v_add_f64 v[204:205], v[210:211], v[226:227]
	v_fma_f64 v[0:1], v[185:186], s[8:9], v[0:1]
	v_fma_f64 v[181:182], v[185:186], s[2:3], v[181:182]
	v_fma_f64 v[185:186], v[208:209], s[2:3], v[200:201]
	v_fma_f64 v[206:207], v[208:209], s[8:9], v[198:199]
	s_delay_alu instid0(VALU_DEP_4) | instskip(NEXT) | instid1(VALU_DEP_4)
	v_fma_f64 v[198:199], v[202:203], s[12:13], v[0:1]
	v_fma_f64 v[202:203], v[202:203], s[12:13], v[181:182]
	s_delay_alu instid0(VALU_DEP_4) | instskip(NEXT) | instid1(VALU_DEP_4)
	v_fma_f64 v[200:201], v[204:205], s[12:13], v[185:186]
	v_fma_f64 v[204:205], v[204:205], s[12:13], v[206:207]
	ds_store_b128 v189, v[236:239]
	ds_store_b128 v189, v[198:201] offset:16
	ds_store_b128 v189, v[4:7] offset:32
	;; [unrolled: 1-line block ×4, first 2 shown]
	v_fma_f64 v[4:5], v[248:249], -0.5, v[8:9]
	v_fma_f64 v[6:7], v[252:253], -0.5, v[10:11]
	v_add_f64 v[10:11], v[60:61], v[44:45]
	v_add_f64 v[44:45], v[244:245], v[2:3]
	v_fma_f64 v[8:9], v[230:231], -0.5, v[8:9]
	v_add_f64 v[60:61], v[234:235], v[254:255]
	v_fma_f64 v[0:1], v[232:233], s[14:15], v[4:5]
	v_fma_f64 v[2:3], v[240:241], s[16:17], v[6:7]
	;; [unrolled: 1-line block ×4, first 2 shown]
	s_delay_alu instid0(VALU_DEP_4) | instskip(NEXT) | instid1(VALU_DEP_4)
	v_fma_f64 v[0:1], v[246:247], s[8:9], v[0:1]
	v_fma_f64 v[2:3], v[250:251], s[2:3], v[2:3]
	s_delay_alu instid0(VALU_DEP_4) | instskip(NEXT) | instid1(VALU_DEP_4)
	v_fma_f64 v[4:5], v[246:247], s[2:3], v[4:5]
	v_fma_f64 v[6:7], v[250:251], s[8:9], v[6:7]
	;; [unrolled: 3-line block ×4, first 2 shown]
	v_fma_f64 v[10:11], v[246:247], s[16:17], v[8:9]
	v_fma_f64 v[44:45], v[250:251], s[14:15], v[56:57]
	;; [unrolled: 1-line block ×4, first 2 shown]
	s_delay_alu instid0(VALU_DEP_4) | instskip(NEXT) | instid1(VALU_DEP_4)
	v_fma_f64 v[10:11], v[232:233], s[8:9], v[10:11]
	v_fma_f64 v[44:45], v[240:241], s[2:3], v[44:45]
	s_delay_alu instid0(VALU_DEP_4) | instskip(NEXT) | instid1(VALU_DEP_4)
	v_fma_f64 v[181:182], v[232:233], s[2:3], v[8:9]
	v_fma_f64 v[56:57], v[240:241], s[8:9], v[56:57]
	;; [unrolled: 3-line block ×4, first 2 shown]
	ds_store_b128 v188, v[24:27]
	ds_store_b128 v188, v[8:11] offset:16
	ds_store_b128 v188, v[0:3] offset:32
	;; [unrolled: 1-line block ×4, first 2 shown]
	v_fma_f64 v[4:5], v[28:29], -0.5, v[16:17]
	v_fma_f64 v[6:7], v[32:33], -0.5, v[18:19]
	;; [unrolled: 1-line block ×4, first 2 shown]
	v_add_f64 v[16:17], v[40:41], v[58:59]
	v_add_f64 v[18:19], v[34:35], v[62:63]
	v_add_f64 v[24:25], v[48:49], v[36:37]
	v_add_f64 v[26:27], v[46:47], v[30:31]
	v_fma_f64 v[0:1], v[14:15], s[14:15], v[4:5]
	v_fma_f64 v[2:3], v[12:13], s[16:17], v[6:7]
	v_fma_f64 v[4:5], v[14:15], s[16:17], v[4:5]
	v_fma_f64 v[6:7], v[12:13], s[14:15], v[6:7]
	s_delay_alu instid0(VALU_DEP_4) | instskip(NEXT) | instid1(VALU_DEP_4)
	v_fma_f64 v[0:1], v[50:51], s[8:9], v[0:1]
	v_fma_f64 v[2:3], v[54:55], s[2:3], v[2:3]
	s_delay_alu instid0(VALU_DEP_4) | instskip(NEXT) | instid1(VALU_DEP_4)
	v_fma_f64 v[4:5], v[50:51], s[2:3], v[4:5]
	v_fma_f64 v[6:7], v[54:55], s[8:9], v[6:7]
	;; [unrolled: 3-line block ×4, first 2 shown]
	v_fma_f64 v[16:17], v[50:51], s[16:17], v[8:9]
	v_fma_f64 v[18:19], v[54:55], s[14:15], v[10:11]
	;; [unrolled: 1-line block ×4, first 2 shown]
	s_delay_alu instid0(VALU_DEP_4) | instskip(NEXT) | instid1(VALU_DEP_4)
	v_fma_f64 v[16:17], v[14:15], s[8:9], v[16:17]
	v_fma_f64 v[18:19], v[12:13], s[2:3], v[18:19]
	s_delay_alu instid0(VALU_DEP_4) | instskip(NEXT) | instid1(VALU_DEP_4)
	v_fma_f64 v[14:15], v[14:15], s[2:3], v[8:9]
	v_fma_f64 v[28:29], v[12:13], s[8:9], v[10:11]
	;; [unrolled: 3-line block ×4, first 2 shown]
	ds_store_b128 v187, v[20:23]
	ds_store_b128 v187, v[8:11] offset:16
	ds_store_b128 v187, v[0:3] offset:32
	ds_store_b128 v187, v[4:7] offset:48
	ds_store_b128 v187, v[12:15] offset:64
	s_waitcnt lgkmcnt(0)
	s_barrier
	buffer_gl0_inv
	scratch_load_b128 v[6:9], off, off offset:240 ; 16-byte Folded Reload
	ds_load_b128 v[0:3], v184 offset:1200
	s_waitcnt vmcnt(0) lgkmcnt(0)
	v_mul_f64 v[4:5], v[8:9], v[2:3]
	s_delay_alu instid0(VALU_DEP_1) | instskip(SKIP_3) | instid1(VALU_DEP_1)
	v_fma_f64 v[12:13], v[6:7], v[0:1], v[4:5]
	v_mov_b32_e32 v4, v6
	v_dual_mov_b32 v5, v7 :: v_dual_mov_b32 v6, v8
	v_mov_b32_e32 v7, v9
	v_mul_f64 v[0:1], v[6:7], v[0:1]
	s_delay_alu instid0(VALU_DEP_1) | instskip(SKIP_3) | instid1(VALU_DEP_1)
	v_fma_f64 v[14:15], v[4:5], v[2:3], -v[0:1]
	ds_load_b128 v[0:3], v184 offset:2400
	s_waitcnt lgkmcnt(0)
	v_mul_f64 v[4:5], v[110:111], v[2:3]
	v_fma_f64 v[16:17], v[108:109], v[0:1], v[4:5]
	v_mul_f64 v[0:1], v[110:111], v[0:1]
	s_delay_alu instid0(VALU_DEP_1) | instskip(SKIP_3) | instid1(VALU_DEP_1)
	v_fma_f64 v[18:19], v[108:109], v[2:3], -v[0:1]
	ds_load_b128 v[0:3], v184 offset:3600
	s_waitcnt lgkmcnt(0)
	v_mul_f64 v[4:5], v[94:95], v[2:3]
	v_fma_f64 v[20:21], v[92:93], v[0:1], v[4:5]
	v_mul_f64 v[0:1], v[94:95], v[0:1]
	s_delay_alu instid0(VALU_DEP_2) | instskip(NEXT) | instid1(VALU_DEP_2)
	v_add_f64 v[36:37], v[16:17], -v[20:21]
	v_fma_f64 v[22:23], v[92:93], v[2:3], -v[0:1]
	ds_load_b128 v[0:3], v184 offset:4800
	s_waitcnt lgkmcnt(0)
	v_mul_f64 v[4:5], v[82:83], v[2:3]
	v_add_f64 v[32:33], v[18:19], -v[22:23]
	s_delay_alu instid0(VALU_DEP_2) | instskip(SKIP_1) | instid1(VALU_DEP_2)
	v_fma_f64 v[24:25], v[80:81], v[0:1], v[4:5]
	v_mul_f64 v[0:1], v[82:83], v[0:1]
	v_add_f64 v[38:39], v[12:13], -v[24:25]
	s_delay_alu instid0(VALU_DEP_2) | instskip(SKIP_4) | instid1(VALU_DEP_2)
	v_fma_f64 v[26:27], v[80:81], v[2:3], -v[0:1]
	ds_load_b128 v[0:3], v184 offset:1600
	s_waitcnt lgkmcnt(0)
	v_mul_f64 v[4:5], v[78:79], v[2:3]
	v_add_f64 v[34:35], v[14:15], -v[26:27]
	v_fma_f64 v[80:81], v[76:77], v[0:1], v[4:5]
	v_mul_f64 v[0:1], v[78:79], v[0:1]
	s_delay_alu instid0(VALU_DEP_1) | instskip(SKIP_3) | instid1(VALU_DEP_1)
	v_fma_f64 v[76:77], v[76:77], v[2:3], -v[0:1]
	ds_load_b128 v[0:3], v184 offset:2800
	s_waitcnt lgkmcnt(0)
	v_mul_f64 v[4:5], v[66:67], v[2:3]
	v_fma_f64 v[82:83], v[64:65], v[0:1], v[4:5]
	v_mul_f64 v[0:1], v[66:67], v[0:1]
	s_delay_alu instid0(VALU_DEP_1) | instskip(SKIP_3) | instid1(VALU_DEP_1)
	v_fma_f64 v[92:93], v[64:65], v[2:3], -v[0:1]
	ds_load_b128 v[0:3], v184 offset:4000
	s_waitcnt lgkmcnt(0)
	v_mul_f64 v[4:5], v[70:71], v[2:3]
	;; [unrolled: 7-line block ×7, first 2 shown]
	v_fma_f64 v[72:73], v[104:105], v[0:1], v[4:5]
	v_mul_f64 v[0:1], v[106:107], v[0:1]
	v_add_f64 v[4:5], v[12:13], v[24:25]
	s_delay_alu instid0(VALU_DEP_2) | instskip(SKIP_2) | instid1(VALU_DEP_1)
	v_fma_f64 v[74:75], v[104:105], v[2:3], -v[0:1]
	v_add_f64 v[0:1], v[16:17], -v[12:13]
	v_add_f64 v[2:3], v[20:21], -v[24:25]
	v_add_f64 v[8:9], v[0:1], v[2:3]
	v_add_f64 v[0:1], v[18:19], -v[14:15]
	v_add_f64 v[2:3], v[22:23], -v[26:27]
	s_delay_alu instid0(VALU_DEP_1) | instskip(SKIP_4) | instid1(VALU_DEP_1)
	v_add_f64 v[10:11], v[0:1], v[2:3]
	ds_load_b128 v[0:3], v184
	s_waitcnt lgkmcnt(0)
	v_fma_f64 v[28:29], v[4:5], -0.5, v[0:1]
	v_add_f64 v[4:5], v[14:15], v[26:27]
	v_fma_f64 v[30:31], v[4:5], -0.5, v[2:3]
	s_delay_alu instid0(VALU_DEP_3) | instskip(SKIP_1) | instid1(VALU_DEP_3)
	v_fma_f64 v[4:5], v[32:33], s[14:15], v[28:29]
	v_fma_f64 v[28:29], v[32:33], s[16:17], v[28:29]
	;; [unrolled: 1-line block ×4, first 2 shown]
	s_delay_alu instid0(VALU_DEP_4) | instskip(NEXT) | instid1(VALU_DEP_4)
	v_fma_f64 v[4:5], v[34:35], s[8:9], v[4:5]
	v_fma_f64 v[28:29], v[34:35], s[2:3], v[28:29]
	s_delay_alu instid0(VALU_DEP_4) | instskip(NEXT) | instid1(VALU_DEP_4)
	v_fma_f64 v[6:7], v[38:39], s[2:3], v[6:7]
	v_fma_f64 v[30:31], v[38:39], s[8:9], v[30:31]
	;; [unrolled: 3-line block ×3, first 2 shown]
	v_add_f64 v[28:29], v[16:17], v[20:21]
	v_fma_f64 v[6:7], v[10:11], s[12:13], v[6:7]
	v_fma_f64 v[10:11], v[10:11], s[12:13], v[30:31]
	v_add_f64 v[30:31], v[18:19], v[22:23]
	s_delay_alu instid0(VALU_DEP_4) | instskip(SKIP_2) | instid1(VALU_DEP_4)
	v_fma_f64 v[28:29], v[28:29], -0.5, v[0:1]
	v_add_f64 v[0:1], v[0:1], v[12:13]
	v_add_f64 v[12:13], v[12:13], -v[16:17]
	v_fma_f64 v[30:31], v[30:31], -0.5, v[2:3]
	v_add_f64 v[2:3], v[2:3], v[14:15]
	v_add_f64 v[14:15], v[14:15], -v[18:19]
	v_add_f64 v[0:1], v[0:1], v[16:17]
	v_add_f64 v[16:17], v[24:25], -v[20:21]
	s_delay_alu instid0(VALU_DEP_4) | instskip(SKIP_1) | instid1(VALU_DEP_4)
	v_add_f64 v[2:3], v[2:3], v[18:19]
	v_add_f64 v[18:19], v[26:27], -v[22:23]
	v_add_f64 v[0:1], v[0:1], v[20:21]
	v_fma_f64 v[20:21], v[34:35], s[16:17], v[28:29]
	v_add_f64 v[16:17], v[12:13], v[16:17]
	v_add_f64 v[2:3], v[2:3], v[22:23]
	v_fma_f64 v[22:23], v[34:35], s[14:15], v[28:29]
	v_add_f64 v[0:1], v[0:1], v[24:25]
	v_fma_f64 v[24:25], v[38:39], s[14:15], v[30:31]
	;; [unrolled: 2-line block ×3, first 2 shown]
	v_add_f64 v[28:29], v[80:81], -v[82:83]
	v_add_f64 v[34:35], v[110:111], -v[78:79]
	v_add_f64 v[2:3], v[2:3], v[26:27]
	v_fma_f64 v[26:27], v[38:39], s[16:17], v[30:31]
	v_fma_f64 v[20:21], v[32:33], s[2:3], v[22:23]
	;; [unrolled: 1-line block ×3, first 2 shown]
	v_add_f64 v[30:31], v[76:77], -v[92:93]
	v_fma_f64 v[12:13], v[16:17], s[12:13], v[12:13]
	v_add_f64 v[32:33], v[108:109], -v[94:95]
	v_fma_f64 v[22:23], v[36:37], s[8:9], v[26:27]
	v_fma_f64 v[16:17], v[16:17], s[12:13], v[20:21]
	;; [unrolled: 1-line block ×3, first 2 shown]
	s_delay_alu instid0(VALU_DEP_3)
	v_fma_f64 v[18:19], v[18:19], s[12:13], v[22:23]
	ds_load_b128 v[20:23], v184 offset:800
	ds_load_b128 v[88:91], v184 offset:400
	s_waitcnt lgkmcnt(0)
	s_barrier
	buffer_gl0_inv
	ds_store_b128 v193, v[0:3]
	ds_store_b128 v193, v[12:15] offset:80
	ds_store_b128 v193, v[4:7] offset:160
	;; [unrolled: 1-line block ×4, first 2 shown]
	v_add_f64 v[0:1], v[82:83], -v[80:81]
	v_add_f64 v[2:3], v[94:95], -v[108:109]
	;; [unrolled: 1-line block ×6, first 2 shown]
	v_add_f64 v[4:5], v[0:1], v[2:3]
	v_add_f64 v[0:1], v[92:93], -v[76:77]
	v_add_f64 v[2:3], v[78:79], -v[110:111]
	s_delay_alu instid0(VALU_DEP_1) | instskip(SKIP_1) | instid1(VALU_DEP_1)
	v_add_f64 v[6:7], v[0:1], v[2:3]
	v_add_f64 v[0:1], v[80:81], v[108:109]
	v_fma_f64 v[8:9], v[0:1], -0.5, v[88:89]
	v_add_f64 v[0:1], v[76:77], v[110:111]
	s_delay_alu instid0(VALU_DEP_1) | instskip(NEXT) | instid1(VALU_DEP_3)
	v_fma_f64 v[10:11], v[0:1], -0.5, v[90:91]
	v_fma_f64 v[0:1], v[12:13], s[14:15], v[8:9]
	v_fma_f64 v[8:9], v[12:13], s[16:17], v[8:9]
	s_delay_alu instid0(VALU_DEP_3) | instskip(NEXT) | instid1(VALU_DEP_3)
	v_fma_f64 v[2:3], v[16:17], s[16:17], v[10:11]
	v_fma_f64 v[0:1], v[14:15], s[8:9], v[0:1]
	s_delay_alu instid0(VALU_DEP_3) | instskip(SKIP_1) | instid1(VALU_DEP_4)
	v_fma_f64 v[8:9], v[14:15], s[2:3], v[8:9]
	v_fma_f64 v[10:11], v[16:17], s[14:15], v[10:11]
	;; [unrolled: 1-line block ×3, first 2 shown]
	s_delay_alu instid0(VALU_DEP_4) | instskip(NEXT) | instid1(VALU_DEP_4)
	v_fma_f64 v[0:1], v[4:5], s[12:13], v[0:1]
	v_fma_f64 v[4:5], v[4:5], s[12:13], v[8:9]
	v_add_f64 v[8:9], v[82:83], v[94:95]
	v_fma_f64 v[10:11], v[18:19], s[8:9], v[10:11]
	v_fma_f64 v[2:3], v[6:7], s[12:13], v[2:3]
	s_delay_alu instid0(VALU_DEP_3) | instskip(SKIP_1) | instid1(VALU_DEP_4)
	v_fma_f64 v[24:25], v[8:9], -0.5, v[88:89]
	v_add_f64 v[8:9], v[92:93], v[78:79]
	v_fma_f64 v[6:7], v[6:7], s[12:13], v[10:11]
	v_add_f64 v[10:11], v[90:91], v[76:77]
	s_delay_alu instid0(VALU_DEP_4) | instskip(NEXT) | instid1(VALU_DEP_4)
	v_fma_f64 v[36:37], v[14:15], s[16:17], v[24:25]
	v_fma_f64 v[26:27], v[8:9], -0.5, v[90:91]
	v_add_f64 v[8:9], v[88:89], v[80:81]
	s_delay_alu instid0(VALU_DEP_4) | instskip(SKIP_1) | instid1(VALU_DEP_4)
	v_add_f64 v[10:11], v[10:11], v[92:93]
	v_fma_f64 v[14:15], v[14:15], s[14:15], v[24:25]
	v_fma_f64 v[24:25], v[18:19], s[14:15], v[26:27]
	s_delay_alu instid0(VALU_DEP_4)
	v_add_f64 v[8:9], v[8:9], v[82:83]
	v_fma_f64 v[18:19], v[18:19], s[16:17], v[26:27]
	v_add_f64 v[10:11], v[10:11], v[78:79]
	v_add_f64 v[26:27], v[28:29], v[32:33]
	;; [unrolled: 1-line block ×3, first 2 shown]
	v_fma_f64 v[30:31], v[12:13], s[8:9], v[36:37]
	v_fma_f64 v[32:33], v[12:13], s[2:3], v[14:15]
	;; [unrolled: 1-line block ×3, first 2 shown]
	v_add_f64 v[8:9], v[8:9], v[94:95]
	v_fma_f64 v[18:19], v[16:17], s[8:9], v[18:19]
	v_add_f64 v[10:11], v[10:11], v[110:111]
	v_fma_f64 v[12:13], v[26:27], s[12:13], v[30:31]
	v_fma_f64 v[16:17], v[26:27], s[12:13], v[32:33]
	v_add_f64 v[30:31], v[74:75], -v[70:71]
	v_fma_f64 v[14:15], v[28:29], s[12:13], v[14:15]
	v_add_f64 v[8:9], v[8:9], v[108:109]
	v_fma_f64 v[18:19], v[28:29], s[12:13], v[18:19]
	ds_store_b128 v192, v[8:11]
	ds_store_b128 v192, v[12:15] offset:80
	ds_store_b128 v192, v[0:3] offset:160
	;; [unrolled: 1-line block ×4, first 2 shown]
	v_add_f64 v[0:1], v[64:65], -v[62:63]
	v_add_f64 v[2:3], v[68:69], -v[72:73]
	;; [unrolled: 1-line block ×7, first 2 shown]
	v_add_f64 v[4:5], v[0:1], v[2:3]
	v_add_f64 v[0:1], v[66:67], -v[60:61]
	v_add_f64 v[2:3], v[70:71], -v[74:75]
	s_delay_alu instid0(VALU_DEP_1) | instskip(SKIP_1) | instid1(VALU_DEP_1)
	v_add_f64 v[6:7], v[0:1], v[2:3]
	v_add_f64 v[0:1], v[62:63], v[72:73]
	v_fma_f64 v[8:9], v[0:1], -0.5, v[20:21]
	v_add_f64 v[0:1], v[60:61], v[74:75]
	s_delay_alu instid0(VALU_DEP_1) | instskip(NEXT) | instid1(VALU_DEP_3)
	v_fma_f64 v[10:11], v[0:1], -0.5, v[22:23]
	v_fma_f64 v[0:1], v[12:13], s[14:15], v[8:9]
	v_fma_f64 v[8:9], v[12:13], s[16:17], v[8:9]
	s_delay_alu instid0(VALU_DEP_3) | instskip(NEXT) | instid1(VALU_DEP_3)
	v_fma_f64 v[2:3], v[16:17], s[16:17], v[10:11]
	v_fma_f64 v[0:1], v[14:15], s[8:9], v[0:1]
	s_delay_alu instid0(VALU_DEP_3) | instskip(SKIP_1) | instid1(VALU_DEP_4)
	v_fma_f64 v[8:9], v[14:15], s[2:3], v[8:9]
	v_fma_f64 v[10:11], v[16:17], s[14:15], v[10:11]
	;; [unrolled: 1-line block ×3, first 2 shown]
	s_delay_alu instid0(VALU_DEP_4) | instskip(NEXT) | instid1(VALU_DEP_4)
	v_fma_f64 v[0:1], v[4:5], s[12:13], v[0:1]
	v_fma_f64 v[4:5], v[4:5], s[12:13], v[8:9]
	v_add_f64 v[8:9], v[64:65], v[68:69]
	v_fma_f64 v[10:11], v[18:19], s[8:9], v[10:11]
	v_fma_f64 v[2:3], v[6:7], s[12:13], v[2:3]
	s_delay_alu instid0(VALU_DEP_3) | instskip(SKIP_1) | instid1(VALU_DEP_4)
	v_fma_f64 v[24:25], v[8:9], -0.5, v[20:21]
	v_add_f64 v[8:9], v[66:67], v[70:71]
	v_fma_f64 v[6:7], v[6:7], s[12:13], v[10:11]
	v_add_f64 v[10:11], v[22:23], v[60:61]
	s_delay_alu instid0(VALU_DEP_4) | instskip(NEXT) | instid1(VALU_DEP_4)
	v_fma_f64 v[32:33], v[14:15], s[16:17], v[24:25]
	v_fma_f64 v[26:27], v[8:9], -0.5, v[22:23]
	v_add_f64 v[8:9], v[20:21], v[62:63]
	s_delay_alu instid0(VALU_DEP_4)
	v_add_f64 v[10:11], v[10:11], v[66:67]
	v_add_f64 v[20:21], v[62:63], -v[64:65]
	v_add_f64 v[22:23], v[60:61], -v[66:67]
	v_fma_f64 v[14:15], v[14:15], s[14:15], v[24:25]
	v_fma_f64 v[24:25], v[18:19], s[14:15], v[26:27]
	v_add_f64 v[8:9], v[8:9], v[64:65]
	v_fma_f64 v[18:19], v[18:19], s[16:17], v[26:27]
	v_add_f64 v[10:11], v[10:11], v[70:71]
	v_add_f64 v[20:21], v[20:21], v[28:29]
	;; [unrolled: 1-line block ×3, first 2 shown]
	v_fma_f64 v[26:27], v[12:13], s[8:9], v[32:33]
	v_fma_f64 v[28:29], v[12:13], s[2:3], v[14:15]
	;; [unrolled: 1-line block ×3, first 2 shown]
	v_add_f64 v[8:9], v[8:9], v[68:69]
	v_fma_f64 v[18:19], v[16:17], s[8:9], v[18:19]
	v_add_f64 v[10:11], v[10:11], v[74:75]
	v_fma_f64 v[12:13], v[20:21], s[12:13], v[26:27]
	v_fma_f64 v[16:17], v[20:21], s[12:13], v[28:29]
	;; [unrolled: 1-line block ×3, first 2 shown]
	v_add_f64 v[8:9], v[8:9], v[72:73]
	v_fma_f64 v[18:19], v[22:23], s[12:13], v[18:19]
	ds_store_b128 v191, v[8:11]
	ds_store_b128 v191, v[12:15] offset:80
	ds_store_b128 v191, v[0:3] offset:160
	;; [unrolled: 1-line block ×4, first 2 shown]
	s_waitcnt lgkmcnt(0)
	s_barrier
	buffer_gl0_inv
	ds_load_b128 v[0:3], v184 offset:1200
	ds_load_b128 v[92:95], v184 offset:800
	s_waitcnt lgkmcnt(1)
	v_mul_f64 v[4:5], v[86:87], v[2:3]
	s_delay_alu instid0(VALU_DEP_1) | instskip(SKIP_1) | instid1(VALU_DEP_1)
	v_fma_f64 v[12:13], v[84:85], v[0:1], v[4:5]
	v_mul_f64 v[0:1], v[86:87], v[0:1]
	v_fma_f64 v[14:15], v[84:85], v[2:3], -v[0:1]
	ds_load_b128 v[0:3], v184 offset:1600
	s_waitcnt lgkmcnt(0)
	v_mul_f64 v[4:5], v[86:87], v[2:3]
	s_delay_alu instid0(VALU_DEP_1) | instskip(SKIP_1) | instid1(VALU_DEP_1)
	v_fma_f64 v[24:25], v[84:85], v[0:1], v[4:5]
	v_mul_f64 v[0:1], v[86:87], v[0:1]
	v_fma_f64 v[26:27], v[84:85], v[2:3], -v[0:1]
	;; [unrolled: 7-line block ×4, first 2 shown]
	ds_load_b128 v[0:3], v184 offset:3600
	s_waitcnt lgkmcnt(0)
	v_mul_f64 v[4:5], v[118:119], v[2:3]
	s_delay_alu instid0(VALU_DEP_1) | instskip(SKIP_1) | instid1(VALU_DEP_2)
	v_fma_f64 v[20:21], v[116:117], v[0:1], v[4:5]
	v_mul_f64 v[0:1], v[118:119], v[0:1]
	v_add_f64 v[54:55], v[16:17], -v[20:21]
	s_delay_alu instid0(VALU_DEP_2) | instskip(SKIP_4) | instid1(VALU_DEP_2)
	v_fma_f64 v[22:23], v[116:117], v[2:3], -v[0:1]
	ds_load_b128 v[0:3], v184 offset:4000
	s_waitcnt lgkmcnt(0)
	v_mul_f64 v[4:5], v[118:119], v[2:3]
	v_add_f64 v[50:51], v[18:19], -v[22:23]
	v_fma_f64 v[32:33], v[116:117], v[0:1], v[4:5]
	v_mul_f64 v[0:1], v[118:119], v[0:1]
	s_delay_alu instid0(VALU_DEP_2) | instskip(NEXT) | instid1(VALU_DEP_2)
	v_add_f64 v[56:57], v[28:29], -v[32:33]
	v_fma_f64 v[34:35], v[116:117], v[2:3], -v[0:1]
	ds_load_b128 v[0:3], v184 offset:4800
	s_waitcnt lgkmcnt(0)
	v_mul_f64 v[4:5], v[126:127], v[0:1]
	s_delay_alu instid0(VALU_DEP_1) | instskip(SKIP_1) | instid1(VALU_DEP_2)
	v_fma_f64 v[36:37], v[124:125], v[2:3], -v[4:5]
	v_mul_f64 v[2:3], v[126:127], v[2:3]
	v_add_f64 v[48:49], v[14:15], -v[36:37]
	s_delay_alu instid0(VALU_DEP_2) | instskip(SKIP_4) | instid1(VALU_DEP_2)
	v_fma_f64 v[38:39], v[124:125], v[0:1], v[2:3]
	ds_load_b128 v[0:3], v184 offset:5200
	s_waitcnt lgkmcnt(0)
	v_mul_f64 v[4:5], v[126:127], v[2:3]
	v_add_f64 v[52:53], v[12:13], -v[38:39]
	v_fma_f64 v[40:41], v[124:125], v[0:1], v[4:5]
	v_mul_f64 v[0:1], v[126:127], v[0:1]
	s_delay_alu instid0(VALU_DEP_1) | instskip(SKIP_3) | instid1(VALU_DEP_1)
	v_fma_f64 v[42:43], v[124:125], v[2:3], -v[0:1]
	ds_load_b128 v[0:3], v184 offset:2000
	s_waitcnt lgkmcnt(0)
	v_mul_f64 v[4:5], v[138:139], v[2:3]
	v_fma_f64 v[62:63], v[136:137], v[0:1], v[4:5]
	v_mul_f64 v[0:1], v[138:139], v[0:1]
	s_delay_alu instid0(VALU_DEP_1) | instskip(SKIP_3) | instid1(VALU_DEP_1)
	v_fma_f64 v[60:61], v[136:137], v[2:3], -v[0:1]
	ds_load_b128 v[0:3], v184 offset:3200
	s_waitcnt lgkmcnt(0)
	v_mul_f64 v[4:5], v[130:131], v[2:3]
	;; [unrolled: 7-line block ×4, first 2 shown]
	v_fma_f64 v[72:73], v[140:141], v[0:1], v[4:5]
	v_mul_f64 v[0:1], v[142:143], v[0:1]
	v_add_f64 v[4:5], v[16:17], v[20:21]
	s_delay_alu instid0(VALU_DEP_2) | instskip(SKIP_2) | instid1(VALU_DEP_1)
	v_fma_f64 v[74:75], v[140:141], v[2:3], -v[0:1]
	v_add_f64 v[0:1], v[12:13], -v[16:17]
	v_add_f64 v[2:3], v[38:39], -v[20:21]
	v_add_f64 v[8:9], v[0:1], v[2:3]
	v_add_f64 v[0:1], v[14:15], -v[18:19]
	v_add_f64 v[2:3], v[36:37], -v[22:23]
	s_delay_alu instid0(VALU_DEP_1) | instskip(SKIP_4) | instid1(VALU_DEP_1)
	v_add_f64 v[10:11], v[0:1], v[2:3]
	ds_load_b128 v[0:3], v184
	s_waitcnt lgkmcnt(0)
	v_fma_f64 v[44:45], v[4:5], -0.5, v[0:1]
	v_add_f64 v[4:5], v[18:19], v[22:23]
	v_fma_f64 v[46:47], v[4:5], -0.5, v[2:3]
	s_delay_alu instid0(VALU_DEP_3) | instskip(SKIP_1) | instid1(VALU_DEP_3)
	v_fma_f64 v[4:5], v[48:49], s[16:17], v[44:45]
	v_fma_f64 v[44:45], v[48:49], s[14:15], v[44:45]
	v_fma_f64 v[6:7], v[52:53], s[14:15], v[46:47]
	v_fma_f64 v[46:47], v[52:53], s[16:17], v[46:47]
	s_delay_alu instid0(VALU_DEP_4) | instskip(NEXT) | instid1(VALU_DEP_4)
	v_fma_f64 v[4:5], v[50:51], s[8:9], v[4:5]
	v_fma_f64 v[44:45], v[50:51], s[2:3], v[44:45]
	s_delay_alu instid0(VALU_DEP_4) | instskip(NEXT) | instid1(VALU_DEP_4)
	v_fma_f64 v[6:7], v[54:55], s[2:3], v[6:7]
	v_fma_f64 v[46:47], v[54:55], s[8:9], v[46:47]
	;; [unrolled: 3-line block ×3, first 2 shown]
	v_add_f64 v[44:45], v[12:13], v[38:39]
	v_fma_f64 v[6:7], v[10:11], s[12:13], v[6:7]
	v_fma_f64 v[10:11], v[10:11], s[12:13], v[46:47]
	v_add_f64 v[46:47], v[14:15], v[36:37]
	s_delay_alu instid0(VALU_DEP_4) | instskip(SKIP_2) | instid1(VALU_DEP_4)
	v_fma_f64 v[44:45], v[44:45], -0.5, v[0:1]
	v_add_f64 v[0:1], v[0:1], v[12:13]
	v_add_f64 v[12:13], v[16:17], -v[12:13]
	v_fma_f64 v[46:47], v[46:47], -0.5, v[2:3]
	v_add_f64 v[2:3], v[2:3], v[14:15]
	v_add_f64 v[14:15], v[18:19], -v[14:15]
	v_add_f64 v[0:1], v[0:1], v[16:17]
	v_add_f64 v[16:17], v[20:21], -v[38:39]
	s_delay_alu instid0(VALU_DEP_4) | instskip(SKIP_1) | instid1(VALU_DEP_4)
	v_add_f64 v[2:3], v[2:3], v[18:19]
	v_add_f64 v[18:19], v[22:23], -v[36:37]
	v_add_f64 v[0:1], v[0:1], v[20:21]
	v_fma_f64 v[20:21], v[50:51], s[14:15], v[44:45]
	v_add_f64 v[16:17], v[12:13], v[16:17]
	v_add_f64 v[2:3], v[2:3], v[22:23]
	v_fma_f64 v[22:23], v[50:51], s[16:17], v[44:45]
	v_add_f64 v[0:1], v[0:1], v[38:39]
	v_fma_f64 v[38:39], v[54:55], s[14:15], v[46:47]
	;; [unrolled: 2-line block ×3, first 2 shown]
	v_add_f64 v[44:45], v[28:29], v[32:33]
	v_add_f64 v[50:51], v[30:31], -v[34:35]
	v_add_f64 v[2:3], v[2:3], v[36:37]
	v_fma_f64 v[36:37], v[54:55], s[16:17], v[46:47]
	v_fma_f64 v[20:21], v[48:49], s[2:3], v[22:23]
	;; [unrolled: 1-line block ×3, first 2 shown]
	v_add_f64 v[46:47], v[30:31], v[34:35]
	v_fma_f64 v[12:13], v[16:17], s[12:13], v[12:13]
	v_add_f64 v[48:49], v[26:27], -v[42:43]
	v_add_f64 v[54:55], v[24:25], -v[40:41]
	v_fma_f64 v[14:15], v[52:53], s[2:3], v[36:37]
	v_fma_f64 v[16:17], v[16:17], s[12:13], v[20:21]
	v_add_f64 v[20:21], v[24:25], -v[28:29]
	s_delay_alu instid0(VALU_DEP_3) | instskip(SKIP_2) | instid1(VALU_DEP_1)
	v_fma_f64 v[14:15], v[18:19], s[12:13], v[14:15]
	v_fma_f64 v[18:19], v[18:19], s[12:13], v[22:23]
	v_add_f64 v[22:23], v[40:41], -v[32:33]
	v_add_f64 v[36:37], v[20:21], v[22:23]
	v_add_f64 v[20:21], v[26:27], -v[30:31]
	v_add_f64 v[22:23], v[42:43], -v[34:35]
	s_delay_alu instid0(VALU_DEP_1)
	v_add_f64 v[38:39], v[20:21], v[22:23]
	ds_load_b128 v[20:23], v184 offset:400
	s_waitcnt lgkmcnt(0)
	s_barrier
	buffer_gl0_inv
	v_fma_f64 v[44:45], v[44:45], -0.5, v[20:21]
	v_fma_f64 v[46:47], v[46:47], -0.5, v[22:23]
	s_delay_alu instid0(VALU_DEP_2) | instskip(NEXT) | instid1(VALU_DEP_2)
	v_fma_f64 v[52:53], v[48:49], s[16:17], v[44:45]
	v_fma_f64 v[58:59], v[54:55], s[14:15], v[46:47]
	;; [unrolled: 1-line block ×4, first 2 shown]
	s_delay_alu instid0(VALU_DEP_4) | instskip(NEXT) | instid1(VALU_DEP_4)
	v_fma_f64 v[52:53], v[50:51], s[8:9], v[52:53]
	v_fma_f64 v[58:59], v[56:57], s[2:3], v[58:59]
	s_delay_alu instid0(VALU_DEP_4) | instskip(NEXT) | instid1(VALU_DEP_4)
	v_fma_f64 v[44:45], v[50:51], s[2:3], v[44:45]
	v_fma_f64 v[46:47], v[56:57], s[8:9], v[46:47]
	;; [unrolled: 3-line block ×4, first 2 shown]
	v_add_f64 v[36:37], v[24:25], v[40:41]
	v_add_f64 v[38:39], v[26:27], v[42:43]
	v_add_f64 v[44:45], v[72:73], -v[70:71]
	s_delay_alu instid0(VALU_DEP_3) | instskip(NEXT) | instid1(VALU_DEP_3)
	v_fma_f64 v[36:37], v[36:37], -0.5, v[20:21]
	v_fma_f64 v[38:39], v[38:39], -0.5, v[22:23]
	v_add_f64 v[20:21], v[20:21], v[24:25]
	v_add_f64 v[22:23], v[22:23], v[26:27]
	v_add_f64 v[24:25], v[28:29], -v[24:25]
	v_add_f64 v[26:27], v[30:31], -v[26:27]
	s_delay_alu instid0(VALU_DEP_4) | instskip(NEXT) | instid1(VALU_DEP_4)
	v_add_f64 v[20:21], v[20:21], v[28:29]
	v_add_f64 v[22:23], v[22:23], v[30:31]
	v_add_f64 v[28:29], v[32:33], -v[40:41]
	v_add_f64 v[30:31], v[34:35], -v[42:43]
	s_delay_alu instid0(VALU_DEP_4) | instskip(NEXT) | instid1(VALU_DEP_4)
	v_add_f64 v[20:21], v[20:21], v[32:33]
	v_add_f64 v[22:23], v[22:23], v[34:35]
	v_fma_f64 v[32:33], v[50:51], s[14:15], v[36:37]
	v_fma_f64 v[34:35], v[50:51], s[16:17], v[36:37]
	;; [unrolled: 1-line block ×4, first 2 shown]
	v_add_f64 v[24:25], v[24:25], v[28:29]
	v_add_f64 v[26:27], v[26:27], v[30:31]
	;; [unrolled: 1-line block ×4, first 2 shown]
	v_fma_f64 v[28:29], v[48:49], s[8:9], v[32:33]
	v_fma_f64 v[30:31], v[48:49], s[2:3], v[34:35]
	;; [unrolled: 1-line block ×4, first 2 shown]
	v_add_f64 v[38:39], v[64:65], -v[70:71]
	v_add_f64 v[40:41], v[62:63], -v[72:73]
	v_fma_f64 v[84:85], v[24:25], s[12:13], v[28:29]
	v_fma_f64 v[88:89], v[24:25], s[12:13], v[30:31]
	;; [unrolled: 1-line block ×4, first 2 shown]
	v_add_f64 v[24:25], v[64:65], -v[62:63]
	v_add_f64 v[26:27], v[70:71], -v[72:73]
	;; [unrolled: 1-line block ×3, first 2 shown]
	v_add_f64 v[30:31], v[60:61], v[74:75]
	v_add_f64 v[32:33], v[68:69], -v[66:67]
	v_add_f64 v[34:35], v[60:61], -v[74:75]
	v_add_f64 v[24:25], v[24:25], v[26:27]
	v_add_f64 v[26:27], v[68:69], -v[60:61]
	v_fma_f64 v[30:31], v[30:31], -0.5, v[94:95]
	s_delay_alu instid0(VALU_DEP_2) | instskip(SKIP_1) | instid1(VALU_DEP_3)
	v_add_f64 v[26:27], v[26:27], v[28:29]
	v_add_f64 v[28:29], v[62:63], v[72:73]
	v_fma_f64 v[42:43], v[38:39], s[16:17], v[30:31]
	v_fma_f64 v[30:31], v[38:39], s[14:15], v[30:31]
	s_delay_alu instid0(VALU_DEP_3) | instskip(NEXT) | instid1(VALU_DEP_3)
	v_fma_f64 v[28:29], v[28:29], -0.5, v[92:93]
	v_fma_f64 v[42:43], v[40:41], s[2:3], v[42:43]
	s_delay_alu instid0(VALU_DEP_3) | instskip(NEXT) | instid1(VALU_DEP_3)
	v_fma_f64 v[30:31], v[40:41], s[8:9], v[30:31]
	v_fma_f64 v[36:37], v[32:33], s[14:15], v[28:29]
	;; [unrolled: 1-line block ×3, first 2 shown]
	s_delay_alu instid0(VALU_DEP_3)
	v_fma_f64 v[102:103], v[26:27], s[12:13], v[30:31]
	v_add_f64 v[30:31], v[94:95], v[60:61]
	v_fma_f64 v[98:99], v[26:27], s[12:13], v[42:43]
	v_add_f64 v[26:27], v[68:69], v[66:67]
	v_add_f64 v[42:43], v[60:61], -v[68:69]
	v_fma_f64 v[36:37], v[34:35], s[8:9], v[36:37]
	v_fma_f64 v[28:29], v[34:35], s[2:3], v[28:29]
	v_add_f64 v[30:31], v[30:31], v[68:69]
	v_fma_f64 v[26:27], v[26:27], -0.5, v[94:95]
	s_delay_alu instid0(VALU_DEP_4) | instskip(NEXT) | instid1(VALU_DEP_4)
	v_fma_f64 v[96:97], v[24:25], s[12:13], v[36:37]
	v_fma_f64 v[100:101], v[24:25], s[12:13], v[28:29]
	v_add_f64 v[28:29], v[92:93], v[62:63]
	v_add_f64 v[24:25], v[64:65], v[70:71]
	;; [unrolled: 1-line block ×3, first 2 shown]
	v_add_f64 v[36:37], v[62:63], -v[64:65]
	s_delay_alu instid0(VALU_DEP_4) | instskip(NEXT) | instid1(VALU_DEP_4)
	v_add_f64 v[28:29], v[28:29], v[64:65]
	v_fma_f64 v[24:25], v[24:25], -0.5, v[92:93]
	s_delay_alu instid0(VALU_DEP_4) | instskip(NEXT) | instid1(VALU_DEP_4)
	v_add_f64 v[62:63], v[30:31], v[74:75]
	v_add_f64 v[36:37], v[36:37], v[44:45]
	s_delay_alu instid0(VALU_DEP_4) | instskip(NEXT) | instid1(VALU_DEP_4)
	v_add_f64 v[28:29], v[28:29], v[70:71]
	v_fma_f64 v[30:31], v[34:35], s[16:17], v[24:25]
	v_fma_f64 v[24:25], v[34:35], s[14:15], v[24:25]
	;; [unrolled: 1-line block ×4, first 2 shown]
	v_add_f64 v[60:61], v[28:29], v[72:73]
	v_add_f64 v[28:29], v[74:75], -v[66:67]
	v_fma_f64 v[30:31], v[32:33], s[8:9], v[30:31]
	v_fma_f64 v[24:25], v[32:33], s[2:3], v[24:25]
	;; [unrolled: 1-line block ×4, first 2 shown]
	s_mul_i32 s2, s5, 0x4b0
	s_mul_hi_u32 s3, s4, 0x4b0
	s_delay_alu instid0(SALU_CYCLE_1) | instskip(SKIP_1) | instid1(SALU_CYCLE_1)
	s_add_i32 s3, s3, s2
	s_mul_i32 s2, s5, 0xffffeed0
	s_sub_i32 s2, s2, s4
	v_add_f64 v[28:29], v[42:43], v[28:29]
	v_fma_f64 v[64:65], v[36:37], s[12:13], v[30:31]
	v_fma_f64 v[68:69], v[36:37], s[12:13], v[24:25]
	s_delay_alu instid0(VALU_DEP_3)
	v_fma_f64 v[66:67], v[28:29], s[12:13], v[32:33]
	v_fma_f64 v[70:71], v[28:29], s[12:13], v[26:27]
	ds_store_b128 v184, v[0:3]
	ds_store_b128 v184, v[20:23] offset:2000
	ds_store_b128 v184, v[4:7] offset:400
	;; [unrolled: 1-line block ×14, first 2 shown]
	s_waitcnt lgkmcnt(0)
	s_barrier
	buffer_gl0_inv
	ds_load_b128 v[0:3], v184 offset:2000
	ds_load_b128 v[84:87], v184 offset:1600
	;; [unrolled: 1-line block ×4, first 2 shown]
	s_waitcnt lgkmcnt(3)
	v_mul_f64 v[4:5], v[122:123], v[2:3]
	s_delay_alu instid0(VALU_DEP_1) | instskip(SKIP_1) | instid1(VALU_DEP_1)
	v_fma_f64 v[4:5], v[120:121], v[0:1], v[4:5]
	v_mul_f64 v[0:1], v[122:123], v[0:1]
	v_fma_f64 v[6:7], v[120:121], v[2:3], -v[0:1]
	ds_load_b128 v[0:3], v184 offset:4000
	s_waitcnt lgkmcnt(0)
	v_mul_f64 v[8:9], v[146:147], v[2:3]
	s_delay_alu instid0(VALU_DEP_1) | instskip(SKIP_1) | instid1(VALU_DEP_1)
	v_fma_f64 v[8:9], v[144:145], v[0:1], v[8:9]
	v_mul_f64 v[0:1], v[146:147], v[0:1]
	v_fma_f64 v[10:11], v[144:145], v[2:3], -v[0:1]
	ds_load_b128 v[0:3], v184 offset:2400
	s_waitcnt lgkmcnt(0)
	v_mul_f64 v[12:13], v[150:151], v[2:3]
	v_add_f64 v[14:15], v[6:7], v[10:11]
	s_delay_alu instid0(VALU_DEP_2) | instskip(SKIP_1) | instid1(VALU_DEP_1)
	v_fma_f64 v[16:17], v[148:149], v[0:1], v[12:13]
	v_mul_f64 v[0:1], v[150:151], v[0:1]
	v_fma_f64 v[18:19], v[148:149], v[2:3], -v[0:1]
	ds_load_b128 v[0:3], v184 offset:4400
	s_waitcnt lgkmcnt(0)
	v_mul_f64 v[12:13], v[154:155], v[2:3]
	s_delay_alu instid0(VALU_DEP_1) | instskip(SKIP_1) | instid1(VALU_DEP_2)
	v_fma_f64 v[20:21], v[152:153], v[0:1], v[12:13]
	v_mul_f64 v[0:1], v[154:155], v[0:1]
	v_add_f64 v[48:49], v[16:17], v[20:21]
	s_delay_alu instid0(VALU_DEP_2) | instskip(SKIP_4) | instid1(VALU_DEP_2)
	v_fma_f64 v[22:23], v[152:153], v[2:3], -v[0:1]
	ds_load_b128 v[0:3], v184 offset:2800
	s_waitcnt lgkmcnt(0)
	v_mul_f64 v[12:13], v[158:159], v[2:3]
	v_add_f64 v[50:51], v[18:19], v[22:23]
	v_fma_f64 v[24:25], v[156:157], v[0:1], v[12:13]
	v_mul_f64 v[0:1], v[158:159], v[0:1]
	s_delay_alu instid0(VALU_DEP_2) | instskip(NEXT) | instid1(VALU_DEP_2)
	v_add_f64 v[54:55], v[60:61], v[24:25]
	v_fma_f64 v[26:27], v[156:157], v[2:3], -v[0:1]
	ds_load_b128 v[0:3], v184 offset:4800
	s_waitcnt lgkmcnt(0)
	v_mul_f64 v[12:13], v[162:163], v[2:3]
	v_add_f64 v[52:53], v[62:63], v[26:27]
	s_delay_alu instid0(VALU_DEP_2) | instskip(SKIP_1) | instid1(VALU_DEP_1)
	v_fma_f64 v[28:29], v[160:161], v[0:1], v[12:13]
	v_mul_f64 v[0:1], v[162:163], v[0:1]
	v_fma_f64 v[30:31], v[160:161], v[2:3], -v[0:1]
	ds_load_b128 v[0:3], v184 offset:3200
	s_waitcnt lgkmcnt(0)
	v_mul_f64 v[12:13], v[166:167], v[2:3]
	s_delay_alu instid0(VALU_DEP_1) | instskip(SKIP_1) | instid1(VALU_DEP_1)
	v_fma_f64 v[32:33], v[164:165], v[0:1], v[12:13]
	v_mul_f64 v[0:1], v[166:167], v[0:1]
	v_fma_f64 v[34:35], v[164:165], v[2:3], -v[0:1]
	ds_load_b128 v[0:3], v184 offset:5200
	s_waitcnt lgkmcnt(0)
	v_mul_f64 v[12:13], v[170:171], v[2:3]
	s_delay_alu instid0(VALU_DEP_1) | instskip(SKIP_1) | instid1(VALU_DEP_1)
	;; [unrolled: 7-line block ×3, first 2 shown]
	v_fma_f64 v[40:41], v[172:173], v[0:1], v[12:13]
	v_mul_f64 v[0:1], v[174:175], v[0:1]
	v_fma_f64 v[42:43], v[172:173], v[2:3], -v[0:1]
	ds_load_b128 v[0:3], v184 offset:5600
	s_waitcnt lgkmcnt(0)
	v_mul_f64 v[12:13], v[178:179], v[2:3]
	s_delay_alu instid0(VALU_DEP_1) | instskip(SKIP_2) | instid1(VALU_DEP_2)
	v_fma_f64 v[44:45], v[176:177], v[0:1], v[12:13]
	v_mul_f64 v[0:1], v[178:179], v[0:1]
	v_add_f64 v[12:13], v[4:5], v[8:9]
	v_fma_f64 v[46:47], v[176:177], v[2:3], -v[0:1]
	ds_load_b128 v[0:3], v184
	s_waitcnt lgkmcnt(0)
	v_fma_f64 v[14:15], v[14:15], -0.5, v[2:3]
	v_add_f64 v[2:3], v[2:3], v[6:7]
	v_fma_f64 v[12:13], v[12:13], -0.5, v[0:1]
	v_add_f64 v[0:1], v[0:1], v[4:5]
	v_add_f64 v[6:7], v[6:7], -v[10:11]
	s_delay_alu instid0(VALU_DEP_4) | instskip(SKIP_1) | instid1(VALU_DEP_4)
	v_add_f64 v[2:3], v[2:3], v[10:11]
	v_add_f64 v[10:11], v[4:5], -v[8:9]
	v_add_f64 v[0:1], v[0:1], v[8:9]
	s_delay_alu instid0(VALU_DEP_4) | instskip(SKIP_1) | instid1(VALU_DEP_4)
	v_fma_f64 v[4:5], v[6:7], s[18:19], v[12:13]
	v_fma_f64 v[8:9], v[6:7], s[10:11], v[12:13]
	;; [unrolled: 1-line block ×4, first 2 shown]
	ds_load_b128 v[12:15], v184 offset:400
	s_waitcnt lgkmcnt(0)
	v_fma_f64 v[50:51], v[50:51], -0.5, v[14:15]
	v_add_f64 v[14:15], v[14:15], v[18:19]
	v_fma_f64 v[48:49], v[48:49], -0.5, v[12:13]
	v_add_f64 v[12:13], v[12:13], v[16:17]
	v_add_f64 v[18:19], v[18:19], -v[22:23]
	s_delay_alu instid0(VALU_DEP_4) | instskip(SKIP_1) | instid1(VALU_DEP_4)
	v_add_f64 v[14:15], v[14:15], v[22:23]
	v_add_f64 v[22:23], v[16:17], -v[20:21]
	v_add_f64 v[12:13], v[12:13], v[20:21]
	s_delay_alu instid0(VALU_DEP_4)
	v_fma_f64 v[16:17], v[18:19], s[18:19], v[48:49]
	v_fma_f64 v[20:21], v[18:19], s[10:11], v[48:49]
	v_add_f64 v[48:49], v[24:25], v[28:29]
	v_add_f64 v[24:25], v[24:25], -v[28:29]
	v_fma_f64 v[18:19], v[22:23], s[10:11], v[50:51]
	v_fma_f64 v[22:23], v[22:23], s[18:19], v[50:51]
	v_add_f64 v[50:51], v[26:27], v[30:31]
	v_add_f64 v[26:27], v[26:27], -v[30:31]
	v_fma_f64 v[48:49], v[48:49], -0.5, v[60:61]
	v_add_f64 v[60:61], v[54:55], v[28:29]
	v_add_f64 v[28:29], v[74:75], v[34:35]
	v_fma_f64 v[50:51], v[50:51], -0.5, v[62:63]
	v_add_f64 v[62:63], v[52:53], v[30:31]
	v_fma_f64 v[64:65], v[26:27], s[18:19], v[48:49]
	v_fma_f64 v[68:69], v[26:27], s[10:11], v[48:49]
	v_add_f64 v[26:27], v[34:35], v[38:39]
	v_add_f64 v[34:35], v[34:35], -v[38:39]
	v_add_f64 v[30:31], v[72:73], v[32:33]
	v_fma_f64 v[66:67], v[24:25], s[10:11], v[50:51]
	v_fma_f64 v[70:71], v[24:25], s[18:19], v[50:51]
	v_add_f64 v[24:25], v[32:33], v[36:37]
	v_fma_f64 v[26:27], v[26:27], -0.5, v[74:75]
	v_add_f64 v[74:75], v[28:29], v[38:39]
	v_add_f64 v[28:29], v[32:33], -v[36:37]
	v_add_f64 v[32:33], v[42:43], -v[46:47]
	v_fma_f64 v[24:25], v[24:25], -0.5, v[72:73]
	v_add_f64 v[72:73], v[30:31], v[36:37]
	v_add_f64 v[30:31], v[84:85], v[40:41]
	v_fma_f64 v[78:79], v[28:29], s[10:11], v[26:27]
	v_fma_f64 v[82:83], v[28:29], s[18:19], v[26:27]
	v_add_f64 v[26:27], v[42:43], v[46:47]
	v_add_f64 v[28:29], v[86:87], v[42:43]
	v_fma_f64 v[76:77], v[34:35], s[18:19], v[24:25]
	v_fma_f64 v[80:81], v[34:35], s[10:11], v[24:25]
	v_add_f64 v[24:25], v[40:41], v[44:45]
	v_fma_f64 v[26:27], v[26:27], -0.5, v[86:87]
	v_add_f64 v[86:87], v[28:29], v[46:47]
	v_add_f64 v[28:29], v[40:41], -v[44:45]
	s_delay_alu instid0(VALU_DEP_4) | instskip(SKIP_1) | instid1(VALU_DEP_3)
	v_fma_f64 v[24:25], v[24:25], -0.5, v[84:85]
	v_add_f64 v[84:85], v[30:31], v[44:45]
	v_fma_f64 v[90:91], v[28:29], s[10:11], v[26:27]
	v_fma_f64 v[94:95], v[28:29], s[18:19], v[26:27]
	s_delay_alu instid0(VALU_DEP_4)
	v_fma_f64 v[88:89], v[32:33], s[18:19], v[24:25]
	v_fma_f64 v[92:93], v[32:33], s[10:11], v[24:25]
	ds_store_b128 v184, v[0:3]
	ds_store_b128 v184, v[12:15] offset:400
	ds_store_b128 v184, v[60:63] offset:800
	;; [unrolled: 1-line block ×14, first 2 shown]
	s_waitcnt lgkmcnt(0)
	s_barrier
	buffer_gl0_inv
	s_clause 0x4
	scratch_load_b128 v[6:9], off, off offset:224
	scratch_load_b128 v[10:13], off, off
	scratch_load_b128 v[14:17], off, off offset:16
	scratch_load_b128 v[18:21], off, off offset:32
	;; [unrolled: 1-line block ×3, first 2 shown]
	ds_load_b128 v[0:3], v184
	s_clause 0x9
	scratch_load_b128 v[26:29], off, off offset:64
	scratch_load_b128 v[30:33], off, off offset:80
	;; [unrolled: 1-line block ×10, first 2 shown]
	s_waitcnt vmcnt(14) lgkmcnt(0)
	v_mul_f64 v[4:5], v[8:9], v[2:3]
	s_delay_alu instid0(VALU_DEP_1) | instskip(SKIP_1) | instid1(VALU_DEP_1)
	v_fma_f64 v[4:5], v[6:7], v[0:1], v[4:5]
	v_mul_f64 v[0:1], v[8:9], v[0:1]
	v_fma_f64 v[6:7], v[6:7], v[2:3], -v[0:1]
	ds_load_b128 v[0:3], v184 offset:1200
	s_waitcnt vmcnt(13) lgkmcnt(0)
	v_mul_f64 v[8:9], v[12:13], v[2:3]
	s_delay_alu instid0(VALU_DEP_1) | instskip(SKIP_1) | instid1(VALU_DEP_1)
	v_fma_f64 v[8:9], v[10:11], v[0:1], v[8:9]
	v_mul_f64 v[0:1], v[12:13], v[0:1]
	v_fma_f64 v[10:11], v[10:11], v[2:3], -v[0:1]
	ds_load_b128 v[0:3], v184 offset:2400
	;; [unrolled: 7-line block ×14, first 2 shown]
	s_waitcnt vmcnt(0) lgkmcnt(0)
	v_mul_f64 v[60:61], v[64:65], v[2:3]
	s_delay_alu instid0(VALU_DEP_1) | instskip(SKIP_1) | instid1(VALU_DEP_1)
	v_fma_f64 v[60:61], v[62:63], v[0:1], v[60:61]
	v_mul_f64 v[0:1], v[64:65], v[0:1]
	v_fma_f64 v[62:63], v[62:63], v[2:3], -v[0:1]
	v_mad_u64_u32 v[0:1], null, s6, v180, 0
	s_mul_i32 s6, s4, 0x4b0
	s_delay_alu instid0(VALU_DEP_1) | instskip(NEXT) | instid1(VALU_DEP_1)
	v_mad_u64_u32 v[2:3], null, s7, v180, v[1:2]
	v_mov_b32_e32 v1, v2
	v_mad_u64_u32 v[2:3], null, s4, v183, 0
	s_delay_alu instid0(VALU_DEP_2) | instskip(NEXT) | instid1(VALU_DEP_2)
	v_lshlrev_b64 v[0:1], 4, v[0:1]
	v_mad_u64_u32 v[64:65], null, s5, v183, v[3:4]
	s_delay_alu instid0(VALU_DEP_1) | instskip(NEXT) | instid1(VALU_DEP_3)
	v_mov_b32_e32 v3, v64
	v_add_co_u32 v64, vcc_lo, s0, v0
	s_delay_alu instid0(VALU_DEP_4) | instskip(NEXT) | instid1(VALU_DEP_3)
	v_add_co_ci_u32_e32 v65, vcc_lo, s1, v1, vcc_lo
	v_lshlrev_b64 v[0:1], 4, v[2:3]
	s_mov_b32 s0, 0xc3ece2a5
	s_mov_b32 s1, 0x3f65d867
	s_delay_alu instid0(SALU_CYCLE_1) | instskip(NEXT) | instid1(VALU_DEP_2)
	v_mul_f64 v[2:3], v[6:7], s[0:1]
	v_add_co_u32 v64, vcc_lo, v64, v0
	s_delay_alu instid0(VALU_DEP_3) | instskip(SKIP_1) | instid1(VALU_DEP_3)
	v_add_co_ci_u32_e32 v65, vcc_lo, v65, v1, vcc_lo
	v_mul_f64 v[0:1], v[4:5], s[0:1]
	v_add_co_u32 v4, vcc_lo, v64, s6
	s_delay_alu instid0(VALU_DEP_3)
	v_add_co_ci_u32_e32 v5, vcc_lo, s3, v65, vcc_lo
	global_store_b128 v[64:65], v[0:3], off
	v_mul_f64 v[0:1], v[8:9], s[0:1]
	v_mul_f64 v[2:3], v[10:11], s[0:1]
	v_mul_f64 v[10:11], v[46:47], s[0:1]
	global_store_b128 v[4:5], v[0:3], off
	v_mul_f64 v[0:1], v[12:13], s[0:1]
	v_mul_f64 v[2:3], v[14:15], s[0:1]
	v_add_co_u32 v4, vcc_lo, v4, s6
	v_add_co_ci_u32_e32 v5, vcc_lo, s3, v5, vcc_lo
	v_mul_f64 v[12:13], v[48:49], s[0:1]
	v_mul_f64 v[14:15], v[50:51], s[0:1]
	global_store_b128 v[4:5], v[0:3], off
	v_mul_f64 v[0:1], v[16:17], s[0:1]
	v_mul_f64 v[2:3], v[18:19], s[0:1]
	v_add_co_u32 v4, vcc_lo, v4, s6
	v_add_co_ci_u32_e32 v5, vcc_lo, s3, v5, vcc_lo
	v_mul_f64 v[16:17], v[52:53], s[0:1]
	v_mul_f64 v[18:19], v[54:55], s[0:1]
	;; [unrolled: 7-line block ×3, first 2 shown]
	s_delay_alu instid0(VALU_DEP_3) | instskip(NEXT) | instid1(VALU_DEP_1)
	v_mad_u64_u32 v[6:7], null, 0xffffeed0, s4, v[4:5]
	v_add_nc_u32_e32 v7, s2, v7
	global_store_b128 v[4:5], v[0:3], off
	v_mul_f64 v[0:1], v[24:25], s[0:1]
	v_mul_f64 v[2:3], v[26:27], s[0:1]
	v_add_co_u32 v4, vcc_lo, v6, s6
	v_add_co_ci_u32_e32 v5, vcc_lo, s3, v7, vcc_lo
	v_mul_f64 v[24:25], v[60:61], s[0:1]
	s_delay_alu instid0(VALU_DEP_3) | instskip(NEXT) | instid1(VALU_DEP_3)
	v_add_co_u32 v8, vcc_lo, v4, s6
	v_add_co_ci_u32_e32 v9, vcc_lo, s3, v5, vcc_lo
	v_mul_f64 v[26:27], v[62:63], s[0:1]
	global_store_b128 v[6:7], v[0:3], off
	v_mul_f64 v[0:1], v[28:29], s[0:1]
	v_mul_f64 v[2:3], v[30:31], s[0:1]
	;; [unrolled: 1-line block ×3, first 2 shown]
	v_add_co_u32 v28, vcc_lo, v8, s6
	v_add_co_ci_u32_e32 v29, vcc_lo, s3, v9, vcc_lo
	s_delay_alu instid0(VALU_DEP_2) | instskip(NEXT) | instid1(VALU_DEP_2)
	v_add_co_u32 v30, vcc_lo, v28, s6
	v_add_co_ci_u32_e32 v31, vcc_lo, s3, v29, vcc_lo
	global_store_b128 v[4:5], v[0:3], off
	v_mul_f64 v[0:1], v[32:33], s[0:1]
	v_mul_f64 v[2:3], v[34:35], s[0:1]
	;; [unrolled: 1-line block ×3, first 2 shown]
	v_mad_u64_u32 v[32:33], null, 0xffffeed0, s4, v[30:31]
	s_delay_alu instid0(VALU_DEP_1) | instskip(NEXT) | instid1(VALU_DEP_2)
	v_add_nc_u32_e32 v33, s2, v33
	v_add_co_u32 v34, vcc_lo, v32, s6
	s_delay_alu instid0(VALU_DEP_2)
	v_add_co_ci_u32_e32 v35, vcc_lo, s3, v33, vcc_lo
	global_store_b128 v[8:9], v[0:3], off
	v_mul_f64 v[0:1], v[40:41], s[0:1]
	v_mul_f64 v[2:3], v[42:43], s[0:1]
	;; [unrolled: 1-line block ×3, first 2 shown]
	global_store_b128 v[28:29], v[4:7], off
	v_add_co_u32 v4, vcc_lo, v34, s6
	v_add_co_ci_u32_e32 v5, vcc_lo, s3, v35, vcc_lo
	s_delay_alu instid0(VALU_DEP_2) | instskip(NEXT) | instid1(VALU_DEP_2)
	v_add_co_u32 v6, vcc_lo, v4, s6
	v_add_co_ci_u32_e32 v7, vcc_lo, s3, v5, vcc_lo
	s_delay_alu instid0(VALU_DEP_2) | instskip(NEXT) | instid1(VALU_DEP_2)
	v_add_co_u32 v28, vcc_lo, v6, s6
	v_add_co_ci_u32_e32 v29, vcc_lo, s3, v7, vcc_lo
	global_store_b128 v[30:31], v[0:3], off
	global_store_b128 v[32:33], v[8:11], off
	;; [unrolled: 1-line block ×6, first 2 shown]
.LBB0_2:
	s_nop 0
	s_sendmsg sendmsg(MSG_DEALLOC_VGPRS)
	s_endpgm
	.section	.rodata,"a",@progbits
	.p2align	6, 0x0
	.amdhsa_kernel bluestein_single_fwd_len375_dim1_dp_op_CI_CI
		.amdhsa_group_segment_fixed_size 30000
		.amdhsa_private_segment_fixed_size 260
		.amdhsa_kernarg_size 104
		.amdhsa_user_sgpr_count 15
		.amdhsa_user_sgpr_dispatch_ptr 0
		.amdhsa_user_sgpr_queue_ptr 0
		.amdhsa_user_sgpr_kernarg_segment_ptr 1
		.amdhsa_user_sgpr_dispatch_id 0
		.amdhsa_user_sgpr_private_segment_size 0
		.amdhsa_wavefront_size32 1
		.amdhsa_uses_dynamic_stack 0
		.amdhsa_enable_private_segment 1
		.amdhsa_system_sgpr_workgroup_id_x 1
		.amdhsa_system_sgpr_workgroup_id_y 0
		.amdhsa_system_sgpr_workgroup_id_z 0
		.amdhsa_system_sgpr_workgroup_info 0
		.amdhsa_system_vgpr_workitem_id 0
		.amdhsa_next_free_vgpr 256
		.amdhsa_next_free_sgpr 20
		.amdhsa_reserve_vcc 1
		.amdhsa_float_round_mode_32 0
		.amdhsa_float_round_mode_16_64 0
		.amdhsa_float_denorm_mode_32 3
		.amdhsa_float_denorm_mode_16_64 3
		.amdhsa_dx10_clamp 1
		.amdhsa_ieee_mode 1
		.amdhsa_fp16_overflow 0
		.amdhsa_workgroup_processor_mode 1
		.amdhsa_memory_ordered 1
		.amdhsa_forward_progress 0
		.amdhsa_shared_vgpr_count 0
		.amdhsa_exception_fp_ieee_invalid_op 0
		.amdhsa_exception_fp_denorm_src 0
		.amdhsa_exception_fp_ieee_div_zero 0
		.amdhsa_exception_fp_ieee_overflow 0
		.amdhsa_exception_fp_ieee_underflow 0
		.amdhsa_exception_fp_ieee_inexact 0
		.amdhsa_exception_int_div_zero 0
	.end_amdhsa_kernel
	.text
.Lfunc_end0:
	.size	bluestein_single_fwd_len375_dim1_dp_op_CI_CI, .Lfunc_end0-bluestein_single_fwd_len375_dim1_dp_op_CI_CI
                                        ; -- End function
	.section	.AMDGPU.csdata,"",@progbits
; Kernel info:
; codeLenInByte = 19892
; NumSgprs: 22
; NumVgprs: 256
; ScratchSize: 260
; MemoryBound: 0
; FloatMode: 240
; IeeeMode: 1
; LDSByteSize: 30000 bytes/workgroup (compile time only)
; SGPRBlocks: 2
; VGPRBlocks: 31
; NumSGPRsForWavesPerEU: 22
; NumVGPRsForWavesPerEU: 256
; Occupancy: 4
; WaveLimiterHint : 1
; COMPUTE_PGM_RSRC2:SCRATCH_EN: 1
; COMPUTE_PGM_RSRC2:USER_SGPR: 15
; COMPUTE_PGM_RSRC2:TRAP_HANDLER: 0
; COMPUTE_PGM_RSRC2:TGID_X_EN: 1
; COMPUTE_PGM_RSRC2:TGID_Y_EN: 0
; COMPUTE_PGM_RSRC2:TGID_Z_EN: 0
; COMPUTE_PGM_RSRC2:TIDIG_COMP_CNT: 0
	.text
	.p2alignl 7, 3214868480
	.fill 96, 4, 3214868480
	.type	__hip_cuid_51e26e00e17a8831,@object ; @__hip_cuid_51e26e00e17a8831
	.section	.bss,"aw",@nobits
	.globl	__hip_cuid_51e26e00e17a8831
__hip_cuid_51e26e00e17a8831:
	.byte	0                               ; 0x0
	.size	__hip_cuid_51e26e00e17a8831, 1

	.ident	"AMD clang version 19.0.0git (https://github.com/RadeonOpenCompute/llvm-project roc-6.4.0 25133 c7fe45cf4b819c5991fe208aaa96edf142730f1d)"
	.section	".note.GNU-stack","",@progbits
	.addrsig
	.addrsig_sym __hip_cuid_51e26e00e17a8831
	.amdgpu_metadata
---
amdhsa.kernels:
  - .args:
      - .actual_access:  read_only
        .address_space:  global
        .offset:         0
        .size:           8
        .value_kind:     global_buffer
      - .actual_access:  read_only
        .address_space:  global
        .offset:         8
        .size:           8
        .value_kind:     global_buffer
      - .actual_access:  read_only
        .address_space:  global
        .offset:         16
        .size:           8
        .value_kind:     global_buffer
      - .actual_access:  read_only
        .address_space:  global
        .offset:         24
        .size:           8
        .value_kind:     global_buffer
      - .actual_access:  read_only
        .address_space:  global
        .offset:         32
        .size:           8
        .value_kind:     global_buffer
      - .offset:         40
        .size:           8
        .value_kind:     by_value
      - .address_space:  global
        .offset:         48
        .size:           8
        .value_kind:     global_buffer
      - .address_space:  global
        .offset:         56
        .size:           8
        .value_kind:     global_buffer
      - .address_space:  global
        .offset:         64
        .size:           8
        .value_kind:     global_buffer
      - .address_space:  global
        .offset:         72
        .size:           8
        .value_kind:     global_buffer
      - .offset:         80
        .size:           4
        .value_kind:     by_value
      - .address_space:  global
        .offset:         88
        .size:           8
        .value_kind:     global_buffer
      - .address_space:  global
        .offset:         96
        .size:           8
        .value_kind:     global_buffer
    .group_segment_fixed_size: 30000
    .kernarg_segment_align: 8
    .kernarg_segment_size: 104
    .language:       OpenCL C
    .language_version:
      - 2
      - 0
    .max_flat_workgroup_size: 125
    .name:           bluestein_single_fwd_len375_dim1_dp_op_CI_CI
    .private_segment_fixed_size: 260
    .sgpr_count:     22
    .sgpr_spill_count: 0
    .symbol:         bluestein_single_fwd_len375_dim1_dp_op_CI_CI.kd
    .uniform_work_group_size: 1
    .uses_dynamic_stack: false
    .vgpr_count:     256
    .vgpr_spill_count: 64
    .wavefront_size: 32
    .workgroup_processor_mode: 1
amdhsa.target:   amdgcn-amd-amdhsa--gfx1100
amdhsa.version:
  - 1
  - 2
...

	.end_amdgpu_metadata
